;; amdgpu-corpus repo=ROCm/aiter kind=harvested arch=n/a opt=n/a

/root/src/amdgpu-assembly/repos/ROCm__aiter/hsa/gfx950/fmoe_2stages/fmoe_stage1_bf16_pertokenInt8_g1u1_128x128_pf2.co:	file format elf64-amdgpu

Disassembly of section .text:

0000000000002a00 <_ZN5aiter46fmoe_stage1_bf16_pertokenInt8_g1u1_128x128_pf2E>:
	s_and_b32 s1, s1, 0xffff                                   // 000000002A00: 8601FF01 0000FFFF
	s_load_dwordx2 s[8:9], s[0:1], 0x0                         // 000000002A08: C0060200 00000000
	s_load_dwordx2 s[20:21], s[0:1], 0x10                      // 000000002A10: C0060500 00000010
	s_load_dwordx2 s[24:25], s[0:1], 0x20                      // 000000002A18: C0060600 00000020
	s_load_dwordx2 s[48:49], s[0:1], 0x30                      // 000000002A20: C0060C00 00000030
	s_load_dwordx2 s[28:29], s[0:1], 0x40                      // 000000002A28: C0060700 00000040
	s_load_dwordx2 s[32:33], s[0:1], 0x50                      // 000000002A30: C0060800 00000050
	s_load_dwordx2 s[36:37], s[0:1], 0x60                      // 000000002A38: C0060900 00000060
	s_load_dwordx2 s[12:13], s[0:1], 0x70                      // 000000002A40: C0060300 00000070
	s_load_dwordx2 s[44:45], s[0:1], 0x80                      // 000000002A48: C0060B00 00000080
	s_mov_b32 s89, 0                                           // 000000002A50: BED90080
	s_load_dword s64, s[0:1], 0x90                             // 000000002A54: C0021000 00000090
	s_load_dword s65, s[0:1], 0xa0                             // 000000002A5C: C0021040 000000A0
	s_load_dword s66, s[0:1], 0xb0                             // 000000002A64: C0021080 000000B0
	s_load_dword s67, s[0:1], 0xc0                             // 000000002A6C: C00210C0 000000C0
	s_load_dword s68, s[0:1], 0xd0                             // 000000002A74: C0021100 000000D0
	s_load_dword s69, s[0:1], 0xe0                             // 000000002A7C: C0021140 000000E0
	s_load_dword s71, s[0:1], 0xf0                             // 000000002A84: C00211C0 000000F0
	s_load_dword s72, s[0:1], 0x100                            // 000000002A8C: C0021200 00000100
	s_load_dword s74, s[0:1], 0x110                            // 000000002A94: C0021280 00000110
	s_load_dword s76, s[0:1], 0x120                            // 000000002A9C: C0021300 00000120
	s_load_dword s56, s[0:1], 0x130                            // 000000002AA4: C0020E00 00000130
	s_load_dword s88, s[0:1], 0x140                            // 000000002AAC: C0021600 00000140
	s_load_dword s89, s[0:1], 0x150                            // 000000002AB4: C0021640 00000150
	v_lshrrev_b32_e32 v1, 10, v0                               // 000000002ABC: 2002008A
	v_lshrrev_b32_e32 v2, 10, v1                               // 000000002AC0: 2004028A
	v_and_b32_e32 v2, 0x3ff, v2                                // 000000002AC4: 260404FF 000003FF
	v_and_b32_e32 v1, 0x3ff, v1                                // 000000002ACC: 260202FF 000003FF
	v_and_b32_e32 v0, 0x3ff, v0                                // 000000002AD4: 260000FF 000003FF
	v_lshrrev_b32_e32 v3, 6, v0                                // 000000002ADC: 20060086
	v_and_b32_e32 v0, 63, v0                                   // 000000002AE0: 260000BF
	s_mov_b32 s2, s2                                           // 000000002AE4: BE820002
	s_mov_b32 s3, s3                                           // 000000002AE8: BE830003
	s_mov_b32 s4, s4                                           // 000000002AEC: BE840004
	v_readfirstlane_b32 s7, v3                                 // 000000002AF0: 7E0E0503
	s_waitcnt lgkmcnt(0)                                       // 000000002AF4: BF8CC07F
	s_and_b32 s49, s49, 0xffff                                 // 000000002AF8: 8631FF31 0000FFFF
	s_load_dword s48, s[48:49], 0x0                            // 000000002B00: C0020C18 00000000
	s_and_b32 s45, s45, 0xffff                                 // 000000002B08: 862DFF2D 0000FFFF
	s_and_b32 s9, s9, 0xffff                                   // 000000002B10: 8609FF09 0000FFFF
	s_mul_i32 s60, s66, s68                                    // 000000002B18: 923C4442
	s_mul_i32 s61, s66, 4                                      // 000000002B1C: 923D8442
	s_mov_b32 s22, s60                                         // 000000002B20: BE96003C
	s_mov_b32 s26, -16                                         // 000000002B24: BE9A00D0
	s_mov_b32 s30, s61                                         // 000000002B28: BE9E003D
	s_mov_b32 s14, 0x200                                       // 000000002B2C: BE8E00FF 00000200
	s_mov_b32 s38, -16                                         // 000000002B34: BEA600D0
	s_mov_b32 s10, -16                                         // 000000002B38: BE8A00D0
	s_mov_b32 s34, 0x200                                       // 000000002B3C: BEA200FF 00000200
	s_mov_b32 s23, 0x20000                                     // 000000002B44: BE9700FF 00020000
	s_mov_b32 s27, 0x20000                                     // 000000002B4C: BE9B00FF 00020000
	s_mov_b32 s31, 0x20000                                     // 000000002B54: BE9F00FF 00020000
	s_mov_b32 s35, 0x20000                                     // 000000002B5C: BEA300FF 00020000
	s_mov_b32 s15, 0x20000                                     // 000000002B64: BE8F00FF 00020000
	s_mov_b32 s39, 0x20000                                     // 000000002B6C: BEA700FF 00020000
	s_mov_b32 s11, 0x20000                                     // 000000002B74: BE8B00FF 00020000
	s_and_b32 s21, s21, 0xffff                                 // 000000002B7C: 8615FF15 0000FFFF
	s_and_b32 s25, s25, 0xffff                                 // 000000002B84: 8619FF19 0000FFFF
	s_and_b32 s29, s29, 0xffff                                 // 000000002B8C: 861DFF1D 0000FFFF
	s_and_b32 s33, s33, 0xffff                                 // 000000002B94: 8621FF21 0000FFFF
	s_and_b32 s13, s13, 0xffff                                 // 000000002B9C: 860DFF0D 0000FFFF
	s_and_b32 s37, s37, 0xffff                                 // 000000002BA4: 8625FF25 0000FFFF
	s_or_b32 s21, s21, 0x40000                                 // 000000002BAC: 8715FF15 00040000
	s_or_b32 s25, s25, 0x40000                                 // 000000002BB4: 8719FF19 00040000
	s_or_b32 s29, s29, 0x40000                                 // 000000002BBC: 871DFF1D 00040000
	s_or_b32 s33, s33, 0x40000                                 // 000000002BC4: 8721FF21 00040000
	s_or_b32 s13, s13, 0x40000                                 // 000000002BCC: 870DFF0D 00040000
	s_or_b32 s37, s37, 0x40000                                 // 000000002BD4: 8725FF25 00040000
	v_accvgpr_write_b32 a159, 0                                // 000000002BDC: D3D9409F 18000080
	v_mov_b32_e32 v207, 0                                      // 000000002BE4: 7F9E0280
	s_waitcnt lgkmcnt(0)                                       // 000000002BE8: BF8CC07F
	s_mul_i32 s60, s3, 0x80                                    // 000000002BEC: 923CFF03 00000080
	s_cmp_lt_i32 s60, s48                                      // 000000002BF4: BF04303C
	s_cbranch_scc0 label_30AE                                  // 000000002BF8: BF84302C
	s_mov_b32 s80, 0                                           // 000000002BFC: BED00080
	s_lshr_b32 s81, s64, s88                                   // 000000002C00: 8F515840
	s_mul_i32 s60, s3, 4                                       // 000000002C04: 923C8403
	s_add_u32 s44, s60, s44                                    // 000000002C08: 802C2C3C
	s_addc_u32 s45, 0, s45                                     // 000000002C0C: 822D2D80
	s_load_dword s5, s[44:45], 0x0                             // 000000002C10: C0020156 00000000
	s_mul_i32 s60, s3, 0x80                                    // 000000002C18: 923CFF03 00000080
	s_mul_i32 s60, 4, s60                                      // 000000002C20: 923C3C84
	s_add_u32 s12, s60, s12                                    // 000000002C24: 800C0C3C
	s_addc_u32 s13, 0, s13                                     // 000000002C28: 820D0D80
	v_and_b32_e32 v4, 15, v0                                   // 000000002C2C: 2608008F
	v_lshlrev_b32_e32 v4, 2, v4                                // 000000002C30: 24080882
	buffer_load_dword v28, v4, s[12:15], 0 offen               // 000000002C34: E0501000 80031C04
	v_add_u32_e32 v4, 64, v4                                   // 000000002C3C: 680808C0
	buffer_load_dword v29, v4, s[12:15], 0 offen               // 000000002C40: E0501000 80031D04
	v_add_u32_e32 v4, 64, v4                                   // 000000002C48: 680808C0
	buffer_load_dword v30, v4, s[12:15], 0 offen               // 000000002C4C: E0501000 80031E04
	v_add_u32_e32 v4, 64, v4                                   // 000000002C54: 680808C0
	buffer_load_dword v31, v4, s[12:15], 0 offen               // 000000002C58: E0501000 80031F04
	v_add_u32_e32 v4, 64, v4                                   // 000000002C60: 680808C0
	buffer_load_dword v32, v4, s[12:15], 0 offen               // 000000002C64: E0501000 80032004
	v_add_u32_e32 v4, 64, v4                                   // 000000002C6C: 680808C0
	buffer_load_dword v33, v4, s[12:15], 0 offen               // 000000002C70: E0501000 80032104
	v_add_u32_e32 v4, 64, v4                                   // 000000002C78: 680808C0
	buffer_load_dword v34, v4, s[12:15], 0 offen               // 000000002C7C: E0501000 80032204
	v_add_u32_e32 v4, 64, v4                                   // 000000002C84: 680808C0
	buffer_load_dword v35, v4, s[12:15], 0 offen               // 000000002C88: E0501000 80032304
	v_add_u32_e32 v4, 64, v4                                   // 000000002C90: 680808C0
	s_mul_i32 s60, 4, s7                                       // 000000002C94: 923C0784
	v_lshlrev_b32_e32 v4, 4, v0                                // 000000002C98: 24080084
	v_add_u32_e32 v4, s60, v4                                  // 000000002C9C: 6808083C
	buffer_load_dword v3, v4, s[12:15], 0 offen                // 000000002CA0: E0501000 80030304
	v_mov_b32_e32 v80, 0                                       // 000000002CA8: 7EA00280
	v_mov_b32_e32 v144, 0                                      // 000000002CAC: 7F200280
	v_mov_b32_e32 v81, 0                                       // 000000002CB0: 7EA20280
	v_mov_b32_e32 v145, 0                                      // 000000002CB4: 7F220280
	v_mov_b32_e32 v82, 0                                       // 000000002CB8: 7EA40280
	v_mov_b32_e32 v146, 0                                      // 000000002CBC: 7F240280
	v_mov_b32_e32 v83, 0                                       // 000000002CC0: 7EA60280
	v_mov_b32_e32 v147, 0                                      // 000000002CC4: 7F260280
	v_mov_b32_e32 v84, 0                                       // 000000002CC8: 7EA80280
	v_mov_b32_e32 v148, 0                                      // 000000002CCC: 7F280280
	v_mov_b32_e32 v85, 0                                       // 000000002CD0: 7EAA0280
	v_mov_b32_e32 v149, 0                                      // 000000002CD4: 7F2A0280
	v_mov_b32_e32 v86, 0                                       // 000000002CD8: 7EAC0280
	v_mov_b32_e32 v150, 0                                      // 000000002CDC: 7F2C0280
	v_mov_b32_e32 v87, 0                                       // 000000002CE0: 7EAE0280
	v_mov_b32_e32 v151, 0                                      // 000000002CE4: 7F2E0280
	v_mov_b32_e32 v88, 0                                       // 000000002CE8: 7EB00280
	v_mov_b32_e32 v152, 0                                      // 000000002CEC: 7F300280
	v_mov_b32_e32 v89, 0                                       // 000000002CF0: 7EB20280
	v_mov_b32_e32 v153, 0                                      // 000000002CF4: 7F320280
	v_mov_b32_e32 v90, 0                                       // 000000002CF8: 7EB40280
	v_mov_b32_e32 v154, 0                                      // 000000002CFC: 7F340280
	v_mov_b32_e32 v91, 0                                       // 000000002D00: 7EB60280
	v_mov_b32_e32 v155, 0                                      // 000000002D04: 7F360280
	v_mov_b32_e32 v92, 0                                       // 000000002D08: 7EB80280
	v_mov_b32_e32 v156, 0                                      // 000000002D0C: 7F380280
	v_mov_b32_e32 v93, 0                                       // 000000002D10: 7EBA0280
	v_mov_b32_e32 v157, 0                                      // 000000002D14: 7F3A0280
	v_mov_b32_e32 v94, 0                                       // 000000002D18: 7EBC0280
	v_mov_b32_e32 v158, 0                                      // 000000002D1C: 7F3C0280
	v_mov_b32_e32 v95, 0                                       // 000000002D20: 7EBE0280
	v_mov_b32_e32 v159, 0                                      // 000000002D24: 7F3E0280
	v_mov_b32_e32 v96, 0                                       // 000000002D28: 7EC00280
	v_mov_b32_e32 v160, 0                                      // 000000002D2C: 7F400280
	v_mov_b32_e32 v97, 0                                       // 000000002D30: 7EC20280
	v_mov_b32_e32 v161, 0                                      // 000000002D34: 7F420280
	v_mov_b32_e32 v98, 0                                       // 000000002D38: 7EC40280
	v_mov_b32_e32 v162, 0                                      // 000000002D3C: 7F440280
	v_mov_b32_e32 v99, 0                                       // 000000002D40: 7EC60280
	v_mov_b32_e32 v163, 0                                      // 000000002D44: 7F460280
	v_mov_b32_e32 v100, 0                                      // 000000002D48: 7EC80280
	v_mov_b32_e32 v164, 0                                      // 000000002D4C: 7F480280
	v_mov_b32_e32 v101, 0                                      // 000000002D50: 7ECA0280
	v_mov_b32_e32 v165, 0                                      // 000000002D54: 7F4A0280
	v_mov_b32_e32 v102, 0                                      // 000000002D58: 7ECC0280
	v_mov_b32_e32 v166, 0                                      // 000000002D5C: 7F4C0280
	v_mov_b32_e32 v103, 0                                      // 000000002D60: 7ECE0280
	v_mov_b32_e32 v167, 0                                      // 000000002D64: 7F4E0280
	v_mov_b32_e32 v104, 0                                      // 000000002D68: 7ED00280
	v_mov_b32_e32 v168, 0                                      // 000000002D6C: 7F500280
	v_mov_b32_e32 v105, 0                                      // 000000002D70: 7ED20280
	v_mov_b32_e32 v169, 0                                      // 000000002D74: 7F520280
	v_mov_b32_e32 v106, 0                                      // 000000002D78: 7ED40280
	v_mov_b32_e32 v170, 0                                      // 000000002D7C: 7F540280
	v_mov_b32_e32 v107, 0                                      // 000000002D80: 7ED60280
	v_mov_b32_e32 v171, 0                                      // 000000002D84: 7F560280
	v_mov_b32_e32 v108, 0                                      // 000000002D88: 7ED80280
	v_mov_b32_e32 v172, 0                                      // 000000002D8C: 7F580280
	v_mov_b32_e32 v109, 0                                      // 000000002D90: 7EDA0280
	v_mov_b32_e32 v173, 0                                      // 000000002D94: 7F5A0280
	v_mov_b32_e32 v110, 0                                      // 000000002D98: 7EDC0280
	v_mov_b32_e32 v174, 0                                      // 000000002D9C: 7F5C0280
	v_mov_b32_e32 v111, 0                                      // 000000002DA0: 7EDE0280
	v_mov_b32_e32 v175, 0                                      // 000000002DA4: 7F5E0280
	v_mov_b32_e32 v112, 0                                      // 000000002DA8: 7EE00280
	v_mov_b32_e32 v176, 0                                      // 000000002DAC: 7F600280
	v_mov_b32_e32 v113, 0                                      // 000000002DB0: 7EE20280
	v_mov_b32_e32 v177, 0                                      // 000000002DB4: 7F620280
	v_mov_b32_e32 v114, 0                                      // 000000002DB8: 7EE40280
	v_mov_b32_e32 v178, 0                                      // 000000002DBC: 7F640280
	v_mov_b32_e32 v115, 0                                      // 000000002DC0: 7EE60280
	v_mov_b32_e32 v179, 0                                      // 000000002DC4: 7F660280
	v_mov_b32_e32 v116, 0                                      // 000000002DC8: 7EE80280
	v_mov_b32_e32 v180, 0                                      // 000000002DCC: 7F680280
	v_mov_b32_e32 v117, 0                                      // 000000002DD0: 7EEA0280
	v_mov_b32_e32 v181, 0                                      // 000000002DD4: 7F6A0280
	v_mov_b32_e32 v118, 0                                      // 000000002DD8: 7EEC0280
	v_mov_b32_e32 v182, 0                                      // 000000002DDC: 7F6C0280
	v_mov_b32_e32 v119, 0                                      // 000000002DE0: 7EEE0280
	v_mov_b32_e32 v183, 0                                      // 000000002DE4: 7F6E0280
	v_mov_b32_e32 v120, 0                                      // 000000002DE8: 7EF00280
	v_mov_b32_e32 v184, 0                                      // 000000002DEC: 7F700280
	v_mov_b32_e32 v121, 0                                      // 000000002DF0: 7EF20280
	v_mov_b32_e32 v185, 0                                      // 000000002DF4: 7F720280
	v_mov_b32_e32 v122, 0                                      // 000000002DF8: 7EF40280
	v_mov_b32_e32 v186, 0                                      // 000000002DFC: 7F740280
	v_mov_b32_e32 v123, 0                                      // 000000002E00: 7EF60280
	v_mov_b32_e32 v187, 0                                      // 000000002E04: 7F760280
	v_mov_b32_e32 v124, 0                                      // 000000002E08: 7EF80280
	v_mov_b32_e32 v188, 0                                      // 000000002E0C: 7F780280
	v_mov_b32_e32 v125, 0                                      // 000000002E10: 7EFA0280
	v_mov_b32_e32 v189, 0                                      // 000000002E14: 7F7A0280
	v_mov_b32_e32 v126, 0                                      // 000000002E18: 7EFC0280
	v_mov_b32_e32 v190, 0                                      // 000000002E1C: 7F7C0280
	v_mov_b32_e32 v127, 0                                      // 000000002E20: 7EFE0280
	v_mov_b32_e32 v191, 0                                      // 000000002E24: 7F7E0280
	v_mov_b32_e32 v128, 0                                      // 000000002E28: 7F000280
	v_mov_b32_e32 v192, 0                                      // 000000002E2C: 7F800280
	v_mov_b32_e32 v129, 0                                      // 000000002E30: 7F020280
	v_mov_b32_e32 v193, 0                                      // 000000002E34: 7F820280
	v_mov_b32_e32 v130, 0                                      // 000000002E38: 7F040280
	v_mov_b32_e32 v194, 0                                      // 000000002E3C: 7F840280
	v_mov_b32_e32 v131, 0                                      // 000000002E40: 7F060280
	v_mov_b32_e32 v195, 0                                      // 000000002E44: 7F860280
	v_mov_b32_e32 v132, 0                                      // 000000002E48: 7F080280
	v_mov_b32_e32 v196, 0                                      // 000000002E4C: 7F880280
	v_mov_b32_e32 v133, 0                                      // 000000002E50: 7F0A0280
	v_mov_b32_e32 v197, 0                                      // 000000002E54: 7F8A0280
	v_mov_b32_e32 v134, 0                                      // 000000002E58: 7F0C0280
	v_mov_b32_e32 v198, 0                                      // 000000002E5C: 7F8C0280
	v_mov_b32_e32 v135, 0                                      // 000000002E60: 7F0E0280
	v_mov_b32_e32 v199, 0                                      // 000000002E64: 7F8E0280
	v_mov_b32_e32 v136, 0                                      // 000000002E68: 7F100280
	v_mov_b32_e32 v200, 0                                      // 000000002E6C: 7F900280
	v_mov_b32_e32 v137, 0                                      // 000000002E70: 7F120280
	v_mov_b32_e32 v201, 0                                      // 000000002E74: 7F920280
	v_mov_b32_e32 v138, 0                                      // 000000002E78: 7F140280
	v_mov_b32_e32 v202, 0                                      // 000000002E7C: 7F940280
	v_mov_b32_e32 v139, 0                                      // 000000002E80: 7F160280
	v_mov_b32_e32 v203, 0                                      // 000000002E84: 7F960280
	v_mov_b32_e32 v140, 0                                      // 000000002E88: 7F180280
	v_mov_b32_e32 v204, 0                                      // 000000002E8C: 7F980280
	v_mov_b32_e32 v141, 0                                      // 000000002E90: 7F1A0280
	v_mov_b32_e32 v205, 0                                      // 000000002E94: 7F9A0280
	v_mov_b32_e32 v142, 0                                      // 000000002E98: 7F1C0280
	v_mov_b32_e32 v206, 0                                      // 000000002E9C: 7F9C0280
	v_mov_b32_e32 v143, 0                                      // 000000002EA0: 7F1E0280
	v_mov_b32_e32 v207, 0                                      // 000000002EA4: 7F9E0280
	s_mul_i32 s60, s2, 0x100                                   // 000000002EA8: 923CFF02 00000100
	s_cmp_eq_u32 s88, 0                                        // 000000002EB0: BF068058
	s_cselect_b32 s61, 1, 2                                    // 000000002EB4: 853D8281
	s_mul_i32 s60, s60, s61                                    // 000000002EB8: 923C3D3C
	s_mov_b32 s90, s8                                          // 000000002EBC: BEDA0008
	s_mov_b32 s91, s9                                          // 000000002EC0: BEDB0009
	s_add_u32 s8, s60, s8                                      // 000000002EC4: 8008083C
	s_addc_u32 s9, 0, s9                                       // 000000002EC8: 82090980
	v_lshrrev_b32_e32 v4, 4, v0                                // 000000002ECC: 20080084
	v_mul_lo_u32 v20, 34, v4                                   // 000000002ED0: D2850014 000208A2
	v_and_b32_e32 v4, 15, v0                                   // 000000002ED8: 2608008F
	v_mul_lo_u32 v5, 2, v4                                     // 000000002EDC: D2850005 00020882
	v_add_u32_e32 v20, v5, v20                                 // 000000002EE4: 68282905
	s_mul_i32 s60, s7, 0x88                                    // 000000002EE8: 923CFF07 00000088
	v_add_u32_e32 v20, s60, v20                                // 000000002EF0: 6828283C
	v_lshlrev_b32_e32 v20, 2, v20                              // 000000002EF4: 24282882
	v_and_b32_e32 v4, 31, v0                                   // 000000002EF8: 2608009F
	v_lshrrev_b32_e32 v4, 1, v4                                // 000000002EFC: 20080881
	v_mul_lo_u32 v21, 34, v4                                   // 000000002F00: D2850015 000208A2
	v_lshrrev_b32_e32 v4, 5, v0                                // 000000002F08: 20080085
	v_mul_lo_u32 v4, 8, v4                                     // 000000002F0C: D2850004 00020888
	v_add_u32_e32 v21, v21, v4                                 // 000000002F14: 682A0915
	v_and_b32_e32 v5, 1, v0                                    // 000000002F18: 260A0081
	v_add_u32_e32 v21, v5, v21                                 // 000000002F1C: 682A2B05
	s_mul_i32 s60, s7, 2                                       // 000000002F20: 923C8207
	v_add_u32_e32 v21, s60, v21                                // 000000002F24: 682A2A3C
	v_lshlrev_b32_e32 v21, 2, v21                              // 000000002F28: 242A2A82
	s_mul_i32 s60, s7, 0x1020                                  // 000000002F2C: 923CFF07 00001020
	s_add_u32 s48, 0, s60                                      // 000000002F34: 80303C80
	s_add_u32 s49, 0x4080, s48                                 // 000000002F38: 803130FF 00004080
	v_lshrrev_b32_e32 v4, 4, v0                                // 000000002F40: 20080084
	v_lshlrev_b32_e32 v5, 2, v4                                // 000000002F44: 240A0882
	v_and_b32_e32 v4, 15, v0                                   // 000000002F48: 2608008F
	v_lshrrev_b32_e32 v6, 2, v4                                // 000000002F4C: 200C0882
	v_lshlrev_b32_e32 v6, 5, v6                                // 000000002F50: 240C0C85
	v_add_u32_e32 v5, v6, v5                                   // 000000002F54: 680A0B06
	v_and_b32_e32 v4, 3, v0                                    // 000000002F58: 26080083
	v_mul_u32_u24_e32 v6, 0x408, v4                            // 000000002F5C: 100C08FF 00000408
	v_add_u32_e32 v5, v6, v5                                   // 000000002F64: 680A0B06
	v_lshlrev_b32_e32 v2, 2, v5                                // 000000002F68: 24040A82
	s_waitcnt lgkmcnt(0)                                       // 000000002F6C: BF8CC07F
	s_mul_i32 s60, s2, 0x80                                    // 000000002F70: 923CFF02 00000080
	s_mul_i32 s60, s60, s69                                    // 000000002F78: 923C453C
	s_mul_i32 s61, s5, s72                                     // 000000002F7C: 923D4805
	s_add_u32 s60, s61, s60                                    // 000000002F80: 803C3C3D
	s_add_u32 s24, s60, s24                                    // 000000002F84: 8018183C
	s_addc_u32 s25, 0, s25                                     // 000000002F88: 82191980
	s_lshr_b32 s60, s64, s88                                   // 000000002F8C: 8F3C5840
	s_mul_i32 s60, s4, s60                                     // 000000002F90: 923C3C04
	s_lshr_b32 s60, s60, 7                                     // 000000002F94: 8F3C873C
	s_mul_i32 s60, s60, 0x800                                  // 000000002F98: 923CFF3C 00000800
	s_add_u32 s24, s60, s24                                    // 000000002FA0: 8018183C
	s_addc_u32 s25, 0, s25                                     // 000000002FA4: 82191980
	s_lshr_b32 s60, s69, s88                                   // 000000002FA8: 8F3C5845
	s_mul_i32 s60, s4, s60                                     // 000000002FAC: 923C3C04
	s_add_u32 s20, s60, s20                                    // 000000002FB0: 8014143C
	s_addc_u32 s21, 0, s21                                     // 000000002FB4: 82151580
	s_mul_i32 s60, s7, 16                                      // 000000002FB8: 923C9007
	s_mul_i32 s60, s60, s69                                    // 000000002FBC: 923C453C
	v_lshlrev_b32_e32 v76, 4, v0                               // 000000002FC0: 24980084
	v_add_u32_e32 v76, s60, v76                                // 000000002FC4: 6898983C
	s_mul_i32 s60, 64, s69                                     // 000000002FC8: 923C45C0
	v_add_u32_e32 v77, s60, v76                                // 000000002FCC: 689A983C
	s_mov_b32 s84, s24                                         // 000000002FD0: BED40018
	s_mov_b32 s85, s25                                         // 000000002FD4: BED50019
	s_mov_b32 s86, s26                                         // 000000002FD8: BED6001A
	s_mov_b32 s87, s27                                         // 000000002FDC: BED7001B
	s_mul_i32 s60, s69, s65                                    // 000000002FE0: 923C4145
	s_add_u32 s84, s60, s84                                    // 000000002FE4: 8054543C
	s_addc_u32 s85, 0, s85                                     // 000000002FE8: 82555580
	v_lshrrev_b32_e32 v4, 4, v0                                // 000000002FEC: 20080084
	v_lshlrev_b32_e32 v5, 2, v4                                // 000000002FF0: 240A0882
	v_and_b32_e32 v4, 15, v0                                   // 000000002FF4: 2608008F
	v_lshrrev_b32_e32 v6, 2, v4                                // 000000002FF8: 200C0882
	v_lshlrev_b32_e32 v6, 6, v6                                // 000000002FFC: 240C0C86
	v_add_u32_e32 v5, v6, v5                                   // 000000003000: 680A0B06
	v_and_b32_e32 v4, 3, v0                                    // 000000003004: 26080083
	v_add_u32_e32 v5, v4, v5                                   // 000000003008: 680A0B04
	v_lshlrev_b32_e32 v22, 2, v5                               // 00000000300C: 242C0A82
	s_mul_i32 s60, s7, 16                                      // 000000003010: 923C9007
	s_mul_i32 s60, s60, 4                                      // 000000003014: 923C843C
	v_add_u32_e32 v22, s60, v22                                // 000000003018: 682C2C3C
	s_mul_i32 s60, s2, 0x80                                    // 00000000301C: 923CFF02 00000080
	s_mul_i32 s60, s60, 4                                      // 000000003024: 923C843C
	s_mul_i32 s61, s5, s74                                     // 000000003028: 923D4A05
	s_add_u32 s61, s61, s60                                    // 00000000302C: 803D3C3D
	s_add_u32 s32, s61, s32                                    // 000000003030: 8020203D
	s_addc_u32 s33, 0, s33                                     // 000000003034: 82212180
	s_mov_b32 s57, 0x80                                        // 000000003038: BEB900FF 00000080
	s_mov_b32 s58, 0x800                                       // 000000003040: BEBA00FF 00000800
	s_mov_b32 s83, s58                                         // 000000003048: BED3003A
	s_mov_b32 s52, 0x7060302                                   // 00000000304C: BEB400FF 07060302
	s_mov_b32 s53, 0x400                                       // 000000003054: BEB500FF 00000400
	s_mov_b32 s54, 0x40100                                     // 00000000305C: BEB600FF 00040100
	s_mov_b32 s55, 0x4020100                                   // 000000003064: BEB700FF 04020100
	s_mov_b32 s6, 0x3fb8aa3b                                   // 00000000306C: BE8600FF 3FB8AA3B
	s_mov_b32 s78, 0xbd92220c                                  // 000000003074: BECE00FF BD92220C
	s_mov_b32 s79, 0xbd92220c                                  // 00000000307C: BECF00FF BD92220C
	s_mov_b32 m0, s48                                          // 000000003084: BEFC0030
	v_mov_b32_e32 v1, 0xbfcc4231                               // 000000003088: 7E0202FF BFCC4231
	v_mov_b32_e32 v17, 0xffff0000                              // 000000003090: 7E2202FF FFFF0000
	v_mov_b32_e32 v18, 0x7fff0000                              // 000000003098: 7E2402FF 7FFF0000
	v_mov_b32_e32 v19, 0x7fff                                  // 0000000030A0: 7E2602FF 00007FFF
	s_waitcnt vmcnt(0) expcnt(0) lgkmcnt(0)                    // 0000000030A8: BF8C0000
	v_lshrrev_b32_e32 v4, 5, v0                                // 0000000030AC: 20080085
	v_xor_b32_e32 v5, 1, v4                                    // 0000000030B0: 2A0A0881
	v_readlane_b32 s82, v3, 0                                  // 0000000030B4: D2890052 00010103
	s_and_b32 s82, s82, 0xffffff                               // 0000000030BC: 8652FF52 00FFFFFF
	v_mul_lo_u32 v6, v5, s82                                   // 0000000030C4: D2850006 0000A505
	v_readlane_b32 s82, v3, 1                                  // 0000000030CC: D2890052 00010303
	s_and_b32 s82, s82, 0xffffff                               // 0000000030D4: 8652FF52 00FFFFFF
	v_mul_lo_u32 v7, v4, s82                                   // 0000000030DC: D2850007 0000A504
	v_add_u32_e32 v60, v6, v7                                  // 0000000030E4: 68780F06
	v_mul_lo_u32 v60, v60, s68                                 // 0000000030E8: D285003C 0000893C
	v_readlane_b32 s82, v3, 2                                  // 0000000030F0: D2890052 00010503
	s_and_b32 s82, s82, 0xffffff                               // 0000000030F8: 8652FF52 00FFFFFF
	v_mul_lo_u32 v6, v5, s82                                   // 000000003100: D2850006 0000A505
	v_readlane_b32 s82, v3, 3                                  // 000000003108: D2890052 00010703
	s_and_b32 s82, s82, 0xffffff                               // 000000003110: 8652FF52 00FFFFFF
	v_mul_lo_u32 v7, v4, s82                                   // 000000003118: D2850007 0000A504
	v_add_u32_e32 v61, v6, v7                                  // 000000003120: 687A0F06
	v_mul_lo_u32 v61, v61, s68                                 // 000000003124: D285003D 0000893D
	v_readlane_b32 s82, v3, 4                                  // 00000000312C: D2890052 00010903
	s_and_b32 s82, s82, 0xffffff                               // 000000003134: 8652FF52 00FFFFFF
	v_mul_lo_u32 v6, v5, s82                                   // 00000000313C: D2850006 0000A505
	v_readlane_b32 s82, v3, 5                                  // 000000003144: D2890052 00010B03
	s_and_b32 s82, s82, 0xffffff                               // 00000000314C: 8652FF52 00FFFFFF
	v_mul_lo_u32 v7, v4, s82                                   // 000000003154: D2850007 0000A504
	v_add_u32_e32 v62, v6, v7                                  // 00000000315C: 687C0F06
	v_mul_lo_u32 v62, v62, s68                                 // 000000003160: D285003E 0000893E
	v_readlane_b32 s82, v3, 6                                  // 000000003168: D2890052 00010D03
	s_and_b32 s82, s82, 0xffffff                               // 000000003170: 8652FF52 00FFFFFF
	v_mul_lo_u32 v6, v5, s82                                   // 000000003178: D2850006 0000A505
	v_readlane_b32 s82, v3, 7                                  // 000000003180: D2890052 00010F03
	s_and_b32 s82, s82, 0xffffff                               // 000000003188: 8652FF52 00FFFFFF
	v_mul_lo_u32 v7, v4, s82                                   // 000000003190: D2850007 0000A504
	v_add_u32_e32 v63, v6, v7                                  // 000000003198: 687E0F06
	v_mul_lo_u32 v63, v63, s68                                 // 00000000319C: D285003F 0000893F
	v_readlane_b32 s82, v3, 8                                  // 0000000031A4: D2890052 00011103
	s_and_b32 s82, s82, 0xffffff                               // 0000000031AC: 8652FF52 00FFFFFF
	v_mul_lo_u32 v6, v5, s82                                   // 0000000031B4: D2850006 0000A505
	v_readlane_b32 s82, v3, 9                                  // 0000000031BC: D2890052 00011303
	s_and_b32 s82, s82, 0xffffff                               // 0000000031C4: 8652FF52 00FFFFFF
	v_mul_lo_u32 v7, v4, s82                                   // 0000000031CC: D2850007 0000A504
	v_add_u32_e32 v64, v6, v7                                  // 0000000031D4: 68800F06
	v_mul_lo_u32 v64, v64, s68                                 // 0000000031D8: D2850040 00008940
	v_readlane_b32 s82, v3, 10                                 // 0000000031E0: D2890052 00011503
	s_and_b32 s82, s82, 0xffffff                               // 0000000031E8: 8652FF52 00FFFFFF
	v_mul_lo_u32 v6, v5, s82                                   // 0000000031F0: D2850006 0000A505
	v_readlane_b32 s82, v3, 11                                 // 0000000031F8: D2890052 00011703
	s_and_b32 s82, s82, 0xffffff                               // 000000003200: 8652FF52 00FFFFFF
	v_mul_lo_u32 v7, v4, s82                                   // 000000003208: D2850007 0000A504
	v_add_u32_e32 v65, v6, v7                                  // 000000003210: 68820F06
	v_mul_lo_u32 v65, v65, s68                                 // 000000003214: D2850041 00008941
	v_readlane_b32 s82, v3, 12                                 // 00000000321C: D2890052 00011903
	s_and_b32 s82, s82, 0xffffff                               // 000000003224: 8652FF52 00FFFFFF
	v_mul_lo_u32 v6, v5, s82                                   // 00000000322C: D2850006 0000A505
	v_readlane_b32 s82, v3, 13                                 // 000000003234: D2890052 00011B03
	s_and_b32 s82, s82, 0xffffff                               // 00000000323C: 8652FF52 00FFFFFF
	v_mul_lo_u32 v7, v4, s82                                   // 000000003244: D2850007 0000A504
	v_add_u32_e32 v66, v6, v7                                  // 00000000324C: 68840F06
	v_mul_lo_u32 v66, v66, s68                                 // 000000003250: D2850042 00008942
	v_readlane_b32 s82, v3, 14                                 // 000000003258: D2890052 00011D03
	s_and_b32 s82, s82, 0xffffff                               // 000000003260: 8652FF52 00FFFFFF
	v_mul_lo_u32 v6, v5, s82                                   // 000000003268: D2850006 0000A505
	v_readlane_b32 s82, v3, 15                                 // 000000003270: D2890052 00011F03
	s_and_b32 s82, s82, 0xffffff                               // 000000003278: 8652FF52 00FFFFFF
	v_mul_lo_u32 v7, v4, s82                                   // 000000003280: D2850007 0000A504
	v_add_u32_e32 v67, v6, v7                                  // 000000003288: 68860F06
	v_mul_lo_u32 v67, v67, s68                                 // 00000000328C: D2850043 00008943
	v_readlane_b32 s82, v3, 16                                 // 000000003294: D2890052 00012103
	s_and_b32 s82, s82, 0xffffff                               // 00000000329C: 8652FF52 00FFFFFF
	v_mul_lo_u32 v6, v5, s82                                   // 0000000032A4: D2850006 0000A505
	v_readlane_b32 s82, v3, 17                                 // 0000000032AC: D2890052 00012303
	s_and_b32 s82, s82, 0xffffff                               // 0000000032B4: 8652FF52 00FFFFFF
	v_mul_lo_u32 v7, v4, s82                                   // 0000000032BC: D2850007 0000A504
	v_add_u32_e32 v68, v6, v7                                  // 0000000032C4: 68880F06
	v_mul_lo_u32 v68, v68, s68                                 // 0000000032C8: D2850044 00008944
	v_readlane_b32 s82, v3, 18                                 // 0000000032D0: D2890052 00012503
	s_and_b32 s82, s82, 0xffffff                               // 0000000032D8: 8652FF52 00FFFFFF
	v_mul_lo_u32 v6, v5, s82                                   // 0000000032E0: D2850006 0000A505
	v_readlane_b32 s82, v3, 19                                 // 0000000032E8: D2890052 00012703
	s_and_b32 s82, s82, 0xffffff                               // 0000000032F0: 8652FF52 00FFFFFF
	v_mul_lo_u32 v7, v4, s82                                   // 0000000032F8: D2850007 0000A504
	v_add_u32_e32 v69, v6, v7                                  // 000000003300: 688A0F06
	v_mul_lo_u32 v69, v69, s68                                 // 000000003304: D2850045 00008945
	v_readlane_b32 s82, v3, 20                                 // 00000000330C: D2890052 00012903
	s_and_b32 s82, s82, 0xffffff                               // 000000003314: 8652FF52 00FFFFFF
	v_mul_lo_u32 v6, v5, s82                                   // 00000000331C: D2850006 0000A505
	v_readlane_b32 s82, v3, 21                                 // 000000003324: D2890052 00012B03
	s_and_b32 s82, s82, 0xffffff                               // 00000000332C: 8652FF52 00FFFFFF
	v_mul_lo_u32 v7, v4, s82                                   // 000000003334: D2850007 0000A504
	v_add_u32_e32 v70, v6, v7                                  // 00000000333C: 688C0F06
	v_mul_lo_u32 v70, v70, s68                                 // 000000003340: D2850046 00008946
	v_readlane_b32 s82, v3, 22                                 // 000000003348: D2890052 00012D03
	s_and_b32 s82, s82, 0xffffff                               // 000000003350: 8652FF52 00FFFFFF
	v_mul_lo_u32 v6, v5, s82                                   // 000000003358: D2850006 0000A505
	v_readlane_b32 s82, v3, 23                                 // 000000003360: D2890052 00012F03
	s_and_b32 s82, s82, 0xffffff                               // 000000003368: 8652FF52 00FFFFFF
	v_mul_lo_u32 v7, v4, s82                                   // 000000003370: D2850007 0000A504
	v_add_u32_e32 v71, v6, v7                                  // 000000003378: 688E0F06
	v_mul_lo_u32 v71, v71, s68                                 // 00000000337C: D2850047 00008947
	v_readlane_b32 s82, v3, 24                                 // 000000003384: D2890052 00013103
	s_and_b32 s82, s82, 0xffffff                               // 00000000338C: 8652FF52 00FFFFFF
	v_mul_lo_u32 v6, v5, s82                                   // 000000003394: D2850006 0000A505
	v_readlane_b32 s82, v3, 25                                 // 00000000339C: D2890052 00013303
	s_and_b32 s82, s82, 0xffffff                               // 0000000033A4: 8652FF52 00FFFFFF
	v_mul_lo_u32 v7, v4, s82                                   // 0000000033AC: D2850007 0000A504
	v_add_u32_e32 v72, v6, v7                                  // 0000000033B4: 68900F06
	v_mul_lo_u32 v72, v72, s68                                 // 0000000033B8: D2850048 00008948
	v_readlane_b32 s82, v3, 26                                 // 0000000033C0: D2890052 00013503
	s_and_b32 s82, s82, 0xffffff                               // 0000000033C8: 8652FF52 00FFFFFF
	v_mul_lo_u32 v6, v5, s82                                   // 0000000033D0: D2850006 0000A505
	v_readlane_b32 s82, v3, 27                                 // 0000000033D8: D2890052 00013703
	s_and_b32 s82, s82, 0xffffff                               // 0000000033E0: 8652FF52 00FFFFFF
	v_mul_lo_u32 v7, v4, s82                                   // 0000000033E8: D2850007 0000A504
	v_add_u32_e32 v73, v6, v7                                  // 0000000033F0: 68920F06
	v_mul_lo_u32 v73, v73, s68                                 // 0000000033F4: D2850049 00008949
	v_readlane_b32 s82, v3, 28                                 // 0000000033FC: D2890052 00013903
	s_and_b32 s82, s82, 0xffffff                               // 000000003404: 8652FF52 00FFFFFF
	v_mul_lo_u32 v6, v5, s82                                   // 00000000340C: D2850006 0000A505
	v_readlane_b32 s82, v3, 29                                 // 000000003414: D2890052 00013B03
	s_and_b32 s82, s82, 0xffffff                               // 00000000341C: 8652FF52 00FFFFFF
	v_mul_lo_u32 v7, v4, s82                                   // 000000003424: D2850007 0000A504
	v_add_u32_e32 v74, v6, v7                                  // 00000000342C: 68940F06
	v_mul_lo_u32 v74, v74, s68                                 // 000000003430: D285004A 0000894A
	v_readlane_b32 s82, v3, 30                                 // 000000003438: D2890052 00013D03
	s_and_b32 s82, s82, 0xffffff                               // 000000003440: 8652FF52 00FFFFFF
	v_mul_lo_u32 v6, v5, s82                                   // 000000003448: D2850006 0000A505
	v_readlane_b32 s82, v3, 31                                 // 000000003450: D2890052 00013F03
	s_and_b32 s82, s82, 0xffffff                               // 000000003458: 8652FF52 00FFFFFF
	v_mul_lo_u32 v7, v4, s82                                   // 000000003460: D2850007 0000A504
	v_add_u32_e32 v75, v6, v7                                  // 000000003468: 68960F06
	v_mul_lo_u32 v75, v75, s68                                 // 00000000346C: D285004B 0000894B
	v_and_b32_e32 v4, 31, v0                                   // 000000003474: 2608009F
	v_lshlrev_b32_e32 v4, 2, v4                                // 000000003478: 24080882
	v_add_u32_e32 v60, v60, v4                                 // 00000000347C: 6878093C
	v_add_u32_e32 v61, v61, v4                                 // 000000003480: 687A093D
	v_add_u32_e32 v62, v62, v4                                 // 000000003484: 687C093E
	v_add_u32_e32 v63, v63, v4                                 // 000000003488: 687E093F
	v_add_u32_e32 v64, v64, v4                                 // 00000000348C: 68800940
	v_add_u32_e32 v65, v65, v4                                 // 000000003490: 68820941
	v_add_u32_e32 v66, v66, v4                                 // 000000003494: 68840942
	;; [unrolled: 1-line block ×3, first 2 shown]
	v_add_u32_e32 v68, v68, v4                                 // 00000000349C: 68880944
	v_add_u32_e32 v69, v69, v4                                 // 0000000034A0: 688A0945
	v_add_u32_e32 v70, v70, v4                                 // 0000000034A4: 688C0946
	v_add_u32_e32 v71, v71, v4                                 // 0000000034A8: 688E0947
	v_add_u32_e32 v72, v72, v4                                 // 0000000034AC: 68900948
	v_add_u32_e32 v73, v73, v4                                 // 0000000034B0: 68920949
	v_add_u32_e32 v74, v74, v4                                 // 0000000034B4: 6894094A
	v_add_u32_e32 v75, v75, v4                                 // 0000000034B8: 6896094B
	v_and_b32_e32 v28, 0xffffff, v28                           // 0000000034BC: 263838FF 00FFFFFF
	v_lshlrev_b32_e32 v28, 2, v28                              // 0000000034C4: 24383882
	v_and_b32_e32 v29, 0xffffff, v29                           // 0000000034C8: 263A3AFF 00FFFFFF
	v_lshlrev_b32_e32 v29, 2, v29                              // 0000000034D0: 243A3A82
	v_and_b32_e32 v30, 0xffffff, v30                           // 0000000034D4: 263C3CFF 00FFFFFF
	v_lshlrev_b32_e32 v30, 2, v30                              // 0000000034DC: 243C3C82
	v_and_b32_e32 v31, 0xffffff, v31                           // 0000000034E0: 263E3EFF 00FFFFFF
	v_lshlrev_b32_e32 v31, 2, v31                              // 0000000034E8: 243E3E82
	v_and_b32_e32 v32, 0xffffff, v32                           // 0000000034EC: 264040FF 00FFFFFF
	v_lshlrev_b32_e32 v32, 2, v32                              // 0000000034F4: 24404082
	v_and_b32_e32 v33, 0xffffff, v33                           // 0000000034F8: 264242FF 00FFFFFF
	v_lshlrev_b32_e32 v33, 2, v33                              // 000000003500: 24424282
	v_and_b32_e32 v34, 0xffffff, v34                           // 000000003504: 264444FF 00FFFFFF
	v_lshlrev_b32_e32 v34, 2, v34                              // 00000000350C: 24444482
	v_and_b32_e32 v35, 0xffffff, v35                           // 000000003510: 264646FF 00FFFFFF
	v_lshlrev_b32_e32 v35, 2, v35                              // 000000003518: 24464682
	s_lshl_b32 s3, s66, 2                                      // 00000000351C: 8E038242
	buffer_load_dword v36, v28, s[28:31], 0 offen              // 000000003520: E0501000 8007241C
	buffer_load_dword v37, v29, s[28:31], 0 offen              // 000000003528: E0501000 8007251D
	buffer_load_dword v38, v30, s[28:31], 0 offen              // 000000003530: E0501000 8007261E
	buffer_load_dword v39, v31, s[28:31], 0 offen              // 000000003538: E0501000 8007271F
	buffer_load_dword v40, v32, s[28:31], 0 offen              // 000000003540: E0501000 80072820
	buffer_load_dword v41, v33, s[28:31], 0 offen              // 000000003548: E0501000 80072921
	buffer_load_dword v42, v34, s[28:31], 0 offen              // 000000003550: E0501000 80072A22
	buffer_load_dword v43, v35, s[28:31], 0 offen              // 000000003558: E0501000 80072B23
	buffer_load_dword v24, v22, s[32:35], 0 offen              // 000000003560: E0501000 80081816
	s_mul_i32 s60, 4, s65                                      // 000000003568: 923C4184
	s_add_u32 s32, s60, s32                                    // 00000000356C: 8020203C
	s_addc_u32 s33, 0, s33                                     // 000000003570: 82212180
	buffer_load_dword v26, v22, s[32:35], 0 offen              // 000000003574: E0501000 80081A16
	buffer_load_dword v60, s[20:23], 0 offen lds               // 00000000357C: E0511000 8005003C
	s_add_u32 m0, 0x100, s48                                   // 000000003584: 807C30FF 00000100
	buffer_load_dword v61, s[20:23], 0 offen lds               // 00000000358C: E0511000 8005003D
	s_add_u32 m0, 0x200, s48                                   // 000000003594: 807C30FF 00000200
	buffer_load_dword v62, s[20:23], 0 offen lds               // 00000000359C: E0511000 8005003E
	s_add_u32 m0, 0x300, s48                                   // 0000000035A4: 807C30FF 00000300
	buffer_load_dword v63, s[20:23], 0 offen lds               // 0000000035AC: E0511000 8005003F
	s_add_u32 m0, 0x400, s48                                   // 0000000035B4: 807C30FF 00000400
	buffer_load_dword v64, s[20:23], 0 offen lds               // 0000000035BC: E0511000 80050040
	s_add_u32 m0, 0x500, s48                                   // 0000000035C4: 807C30FF 00000500
	buffer_load_dword v65, s[20:23], 0 offen lds               // 0000000035CC: E0511000 80050041
	s_add_u32 m0, 0x600, s48                                   // 0000000035D4: 807C30FF 00000600
	buffer_load_dword v66, s[20:23], 0 offen lds               // 0000000035DC: E0511000 80050042
	s_add_u32 m0, 0x700, s48                                   // 0000000035E4: 807C30FF 00000700
	buffer_load_dword v67, s[20:23], 0 offen lds               // 0000000035EC: E0511000 80050043
	s_add_u32 m0, 0x800, s48                                   // 0000000035F4: 807C30FF 00000800
	buffer_load_dword v68, s[20:23], 0 offen lds               // 0000000035FC: E0511000 80050044
	s_add_u32 m0, 0x900, s48                                   // 000000003604: 807C30FF 00000900
	buffer_load_dword v69, s[20:23], 0 offen lds               // 00000000360C: E0511000 80050045
	s_add_u32 m0, 0xa00, s48                                   // 000000003614: 807C30FF 00000A00
	buffer_load_dword v70, s[20:23], 0 offen lds               // 00000000361C: E0511000 80050046
	s_add_u32 m0, 0xb00, s48                                   // 000000003624: 807C30FF 00000B00
	buffer_load_dword v71, s[20:23], 0 offen lds               // 00000000362C: E0511000 80050047
	s_add_u32 m0, 0xc00, s48                                   // 000000003634: 807C30FF 00000C00
	buffer_load_dword v72, s[20:23], 0 offen lds               // 00000000363C: E0511000 80050048
	s_add_u32 m0, 0xd00, s48                                   // 000000003644: 807C30FF 00000D00
	buffer_load_dword v73, s[20:23], 0 offen lds               // 00000000364C: E0511000 80050049
	s_add_u32 m0, 0xe00, s48                                   // 000000003654: 807C30FF 00000E00
	buffer_load_dword v74, s[20:23], 0 offen lds               // 00000000365C: E0511000 8005004A
	s_add_u32 m0, 0xf00, s48                                   // 000000003664: 807C30FF 00000F00
	buffer_load_dword v75, s[20:23], 0 offen lds               // 00000000366C: E0511000 8005004B
	s_add_u32 m0, 0, s49                                       // 000000003674: 807C3180
	s_add_u32 s20, s57, s20                                    // 000000003678: 80141439
	s_addc_u32 s21, 0, s21                                     // 00000000367C: 82151580
	buffer_load_dword v60, s[20:23], 0 offen lds               // 000000003680: E0511000 8005003C
	s_add_u32 m0, 0x100, s49                                   // 000000003688: 807C31FF 00000100
	buffer_load_dword v61, s[20:23], 0 offen lds               // 000000003690: E0511000 8005003D
	s_add_u32 m0, 0x200, s49                                   // 000000003698: 807C31FF 00000200
	buffer_load_dword v62, s[20:23], 0 offen lds               // 0000000036A0: E0511000 8005003E
	s_add_u32 m0, 0x300, s49                                   // 0000000036A8: 807C31FF 00000300
	buffer_load_dword v63, s[20:23], 0 offen lds               // 0000000036B0: E0511000 8005003F
	s_add_u32 m0, 0x400, s49                                   // 0000000036B8: 807C31FF 00000400
	buffer_load_dword v64, s[20:23], 0 offen lds               // 0000000036C0: E0511000 80050040
	s_add_u32 m0, 0x500, s49                                   // 0000000036C8: 807C31FF 00000500
	buffer_load_dword v65, s[20:23], 0 offen lds               // 0000000036D0: E0511000 80050041
	s_add_u32 m0, 0x600, s49                                   // 0000000036D8: 807C31FF 00000600
	buffer_load_dword v66, s[20:23], 0 offen lds               // 0000000036E0: E0511000 80050042
	s_add_u32 m0, 0x700, s49                                   // 0000000036E8: 807C31FF 00000700
	buffer_load_dword v67, s[20:23], 0 offen lds               // 0000000036F0: E0511000 80050043
	s_add_u32 m0, 0x800, s49                                   // 0000000036F8: 807C31FF 00000800
	buffer_load_dword v68, s[20:23], 0 offen lds               // 000000003700: E0511000 80050044
	s_add_u32 m0, 0x900, s49                                   // 000000003708: 807C31FF 00000900
	buffer_load_dword v69, s[20:23], 0 offen lds               // 000000003710: E0511000 80050045
	s_add_u32 m0, 0xa00, s49                                   // 000000003718: 807C31FF 00000A00
	buffer_load_dword v70, s[20:23], 0 offen lds               // 000000003720: E0511000 80050046
	s_add_u32 m0, 0xb00, s49                                   // 000000003728: 807C31FF 00000B00
	buffer_load_dword v71, s[20:23], 0 offen lds               // 000000003730: E0511000 80050047
	s_add_u32 m0, 0xc00, s49                                   // 000000003738: 807C31FF 00000C00
	buffer_load_dword v72, s[20:23], 0 offen lds               // 000000003740: E0511000 80050048
	s_add_u32 m0, 0xd00, s49                                   // 000000003748: 807C31FF 00000D00
	buffer_load_dword v73, s[20:23], 0 offen lds               // 000000003750: E0511000 80050049
	s_add_u32 m0, 0xe00, s49                                   // 000000003758: 807C31FF 00000E00
	buffer_load_dword v74, s[20:23], 0 offen lds               // 000000003760: E0511000 8005004A
	s_add_u32 m0, 0xf00, s49                                   // 000000003768: 807C31FF 00000F00
	buffer_load_dword v75, s[20:23], 0 offen lds               // 000000003770: E0511000 8005004B
	s_add_u32 m0, 0, s48                                       // 000000003778: 807C3080
	s_add_u32 s20, s57, s20                                    // 00000000377C: 80141439
	s_addc_u32 s21, 0, s21                                     // 000000003780: 82151580
	buffer_load_dwordx4 a[128:131], v76, s[24:27], 0 offen     // 000000003784: E05C1000 8086804C
	buffer_load_dwordx4 a[132:135], v76, s[24:27], 0 offen offset:1024// 00000000378C: E05C1400 8086844C
	buffer_load_dwordx4 a[136:139], v77, s[24:27], 0 offen     // 000000003794: E05C1000 8086884D
	buffer_load_dwordx4 a[140:143], v77, s[24:27], 0 offen offset:1024// 00000000379C: E05C1400 80868C4D
	s_add_u32 s24, s58, s24                                    // 0000000037A4: 8018183A
	s_addc_u32 s25, 0, s25                                     // 0000000037A8: 82191980
	s_waitcnt vmcnt(20)                                        // 0000000037AC: BF8C4F74
	s_barrier                                                  // 0000000037B0: BF8A0000
	ds_read_b128 a[0:3], v2                                    // 0000000037B4: DBFE0000 00000002
	ds_read_b128 a[4:7], v2 offset:64                          // 0000000037BC: DBFE0040 04000002
	ds_read_b128 a[8:11], v2 offset:512                        // 0000000037C4: DBFE0200 08000002
	ds_read_b128 a[12:15], v2 offset:576                       // 0000000037CC: DBFE0240 0C000002
	ds_read_b128 a[16:19], v2 offset:1024                      // 0000000037D4: DBFE0400 10000002
	ds_read_b128 a[20:23], v2 offset:1088                      // 0000000037DC: DBFE0440 14000002
	ds_read_b128 a[24:27], v2 offset:1536                      // 0000000037E4: DBFE0600 18000002
	ds_read_b128 a[28:31], v2 offset:1600                      // 0000000037EC: DBFE0640 1C000002
	ds_read_b128 a[32:35], v2 offset:2048                      // 0000000037F4: DBFE0800 20000002
	ds_read_b128 a[36:39], v2 offset:2112                      // 0000000037FC: DBFE0840 24000002
	ds_read_b128 a[40:43], v2 offset:2560                      // 000000003804: DBFE0A00 28000002
	ds_read_b128 a[44:47], v2 offset:2624                      // 00000000380C: DBFE0A40 2C000002
	ds_read_b128 a[48:51], v2 offset:3072                      // 000000003814: DBFE0C00 30000002
	ds_read_b128 a[52:55], v2 offset:3136                      // 00000000381C: DBFE0C40 34000002
	ds_read_b128 a[56:59], v2 offset:3584                      // 000000003824: DBFE0E00 38000002
	ds_read_b128 a[60:63], v2 offset:3648                      // 00000000382C: DBFE0E40 3C000002
	s_cmp_lt_i32 s7, 2                                         // 000000003834: BF048207
	s_cbranch_scc0 label_1A20                                  // 000000003838: BF84168E

000000000000383c <label_038F>:
	s_waitcnt vmcnt(2) lgkmcnt(0)                              // 00000000383C: BF8C0072
	s_barrier                                                  // 000000003840: BF8A0000
	v_mfma_i32_16x16x32_i8 v[80:83], a[128:129], a[0:1], v[80:83]// 000000003844: D3D70050 1D420180
	v_mfma_i32_16x16x32_i8 v[80:83], a[130:131], a[2:3], v[80:83]// 00000000384C: D3D70050 1D420582
	buffer_load_dwordx4 a[144:147], v76, s[84:87], 0 offen     // 000000003854: E05C1000 8095904C
	v_mfma_i32_16x16x32_i8 v[80:83], a[132:133], a[4:5], v[80:83]// 00000000385C: D3D70050 1D420984
	v_mfma_i32_16x16x32_i8 v[80:83], a[134:135], a[6:7], v[80:83]// 000000003864: D3D70050 1D420D86
	v_mfma_i32_16x16x32_i8 v[84:87], a[128:129], a[8:9], v[84:87]// 00000000386C: D3D70054 1D521180
	v_mfma_i32_16x16x32_i8 v[84:87], a[130:131], a[10:11], v[84:87]// 000000003874: D3D70054 1D521582
	buffer_load_dwordx4 a[148:151], v76, s[84:87], 0 offen offset:1024// 00000000387C: E05C1400 8095944C
	v_mfma_i32_16x16x32_i8 v[84:87], a[132:133], a[12:13], v[84:87]// 000000003884: D3D70054 1D521984
	v_mfma_i32_16x16x32_i8 v[84:87], a[134:135], a[14:15], v[84:87]// 00000000388C: D3D70054 1D521D86
	v_mfma_i32_16x16x32_i8 v[88:91], a[128:129], a[16:17], v[88:91]// 000000003894: D3D70058 1D622180
	v_mfma_i32_16x16x32_i8 v[88:91], a[130:131], a[18:19], v[88:91]// 00000000389C: D3D70058 1D622582
	buffer_load_dwordx4 a[152:155], v77, s[84:87], 0 offen     // 0000000038A4: E05C1000 8095984D
	v_mfma_i32_16x16x32_i8 v[88:91], a[132:133], a[20:21], v[88:91]// 0000000038AC: D3D70058 1D622984
	v_mfma_i32_16x16x32_i8 v[88:91], a[134:135], a[22:23], v[88:91]// 0000000038B4: D3D70058 1D622D86
	v_mfma_i32_16x16x32_i8 v[92:95], a[128:129], a[24:25], v[92:95]// 0000000038BC: D3D7005C 1D723180
	v_mfma_i32_16x16x32_i8 v[92:95], a[130:131], a[26:27], v[92:95]// 0000000038C4: D3D7005C 1D723582
	buffer_load_dwordx4 a[156:159], v77, s[84:87], 0 offen offset:1024// 0000000038CC: E05C1400 80959C4D
	buffer_load_dword v60, s[20:23], 0 offen lds               // 0000000038D4: E0511000 8005003C
	s_add_u32 m0, 0x100, s48                                   // 0000000038DC: 807C30FF 00000100
	v_mfma_i32_16x16x32_i8 v[92:95], a[132:133], a[28:29], v[92:95]// 0000000038E4: D3D7005C 1D723984
	v_mfma_i32_16x16x32_i8 v[92:95], a[134:135], a[30:31], v[92:95]// 0000000038EC: D3D7005C 1D723D86
	buffer_load_dword v61, s[20:23], 0 offen lds               // 0000000038F4: E0511000 8005003D
	s_add_u32 m0, 0x200, s48                                   // 0000000038FC: 807C30FF 00000200
	v_mfma_i32_16x16x32_i8 v[96:99], a[128:129], a[32:33], v[96:99]// 000000003904: D3D70060 1D824180
	v_mfma_i32_16x16x32_i8 v[96:99], a[130:131], a[34:35], v[96:99]// 00000000390C: D3D70060 1D824582
	v_mfma_i32_16x16x32_i8 v[96:99], a[132:133], a[36:37], v[96:99]// 000000003914: D3D70060 1D824984
	v_mfma_i32_16x16x32_i8 v[96:99], a[134:135], a[38:39], v[96:99]// 00000000391C: D3D70060 1D824D86
	v_mfma_i32_16x16x32_i8 v[100:103], a[128:129], a[40:41], v[100:103]// 000000003924: D3D70064 1D925180
	v_mfma_i32_16x16x32_i8 v[100:103], a[130:131], a[42:43], v[100:103]// 00000000392C: D3D70064 1D925582
	buffer_load_dword v62, s[20:23], 0 offen lds               // 000000003934: E0511000 8005003E
	s_add_u32 m0, 0x300, s48                                   // 00000000393C: 807C30FF 00000300
	v_mfma_i32_16x16x32_i8 v[100:103], a[132:133], a[44:45], v[100:103]// 000000003944: D3D70064 1D925984
	v_mfma_i32_16x16x32_i8 v[100:103], a[134:135], a[46:47], v[100:103]// 00000000394C: D3D70064 1D925D86
	buffer_load_dword v63, s[20:23], 0 offen lds               // 000000003954: E0511000 8005003F
	s_add_u32 m0, 0x400, s48                                   // 00000000395C: 807C30FF 00000400
	v_mfma_i32_16x16x32_i8 v[104:107], a[128:129], a[48:49], v[104:107]// 000000003964: D3D70068 1DA26180
	v_mfma_i32_16x16x32_i8 v[104:107], a[130:131], a[50:51], v[104:107]// 00000000396C: D3D70068 1DA26582
	v_mfma_i32_16x16x32_i8 v[104:107], a[132:133], a[52:53], v[104:107]// 000000003974: D3D70068 1DA26984
	v_mfma_i32_16x16x32_i8 v[104:107], a[134:135], a[54:55], v[104:107]// 00000000397C: D3D70068 1DA26D86
	v_mfma_i32_16x16x32_i8 v[108:111], a[128:129], a[56:57], v[108:111]// 000000003984: D3D7006C 1DB27180
	v_mfma_i32_16x16x32_i8 v[108:111], a[130:131], a[58:59], v[108:111]// 00000000398C: D3D7006C 1DB27582
	buffer_load_dword v64, s[20:23], 0 offen lds               // 000000003994: E0511000 80050040
	s_add_u32 m0, 0x500, s48                                   // 00000000399C: 807C30FF 00000500
	v_mfma_i32_16x16x32_i8 v[108:111], a[132:133], a[60:61], v[108:111]// 0000000039A4: D3D7006C 1DB27984
	v_mfma_i32_16x16x32_i8 v[108:111], a[134:135], a[62:63], v[108:111]// 0000000039AC: D3D7006C 1DB27D86
	buffer_load_dword v65, s[20:23], 0 offen lds               // 0000000039B4: E0511000 80050041
	s_add_u32 m0, 0x600, s48                                   // 0000000039BC: 807C30FF 00000600
	s_waitcnt vmcnt(10)                                        // 0000000039C4: BF8C0F7A
	v_mfma_i32_16x16x32_i8 v[112:115], a[136:137], a[0:1], v[112:115]// 0000000039C8: D3D70070 1DC20188
	v_mfma_i32_16x16x32_i8 v[112:115], a[138:139], a[2:3], v[112:115]// 0000000039D0: D3D70070 1DC2058A
	buffer_load_dword v66, s[20:23], 0 offen lds               // 0000000039D8: E0511000 80050042
	s_add_u32 m0, 0x700, s48                                   // 0000000039E0: 807C30FF 00000700
	v_mfma_i32_16x16x32_i8 v[112:115], a[140:141], a[4:5], v[112:115]// 0000000039E8: D3D70070 1DC2098C
	v_mfma_i32_16x16x32_i8 v[112:115], a[142:143], a[6:7], v[112:115]// 0000000039F0: D3D70070 1DC20D8E
	buffer_load_dword v67, s[20:23], 0 offen lds               // 0000000039F8: E0511000 80050043
	s_add_u32 m0, 0x800, s48                                   // 000000003A00: 807C30FF 00000800
	v_mfma_i32_16x16x32_i8 v[116:119], a[136:137], a[8:9], v[116:119]// 000000003A08: D3D70074 1DD21188
	v_mfma_i32_16x16x32_i8 v[116:119], a[138:139], a[10:11], v[116:119]// 000000003A10: D3D70074 1DD2158A
	buffer_load_dword v68, s[20:23], 0 offen lds               // 000000003A18: E0511000 80050044
	s_add_u32 m0, 0x900, s48                                   // 000000003A20: 807C30FF 00000900
	v_mfma_i32_16x16x32_i8 v[116:119], a[140:141], a[12:13], v[116:119]// 000000003A28: D3D70074 1DD2198C
	v_mfma_i32_16x16x32_i8 v[116:119], a[142:143], a[14:15], v[116:119]// 000000003A30: D3D70074 1DD21D8E
	buffer_load_dword v69, s[20:23], 0 offen lds               // 000000003A38: E0511000 80050045
	s_add_u32 m0, 0xa00, s48                                   // 000000003A40: 807C30FF 00000A00
	v_mfma_i32_16x16x32_i8 v[120:123], a[136:137], a[16:17], v[120:123]// 000000003A48: D3D70078 1DE22188
	v_mfma_i32_16x16x32_i8 v[120:123], a[138:139], a[18:19], v[120:123]// 000000003A50: D3D70078 1DE2258A
	buffer_load_dword v70, s[20:23], 0 offen lds               // 000000003A58: E0511000 80050046
	s_add_u32 m0, 0xb00, s48                                   // 000000003A60: 807C30FF 00000B00
	v_mfma_i32_16x16x32_i8 v[120:123], a[140:141], a[20:21], v[120:123]// 000000003A68: D3D70078 1DE2298C
	v_mfma_i32_16x16x32_i8 v[120:123], a[142:143], a[22:23], v[120:123]// 000000003A70: D3D70078 1DE22D8E
	buffer_load_dword v71, s[20:23], 0 offen lds               // 000000003A78: E0511000 80050047
	s_add_u32 m0, 0xc00, s48                                   // 000000003A80: 807C30FF 00000C00
	v_mfma_i32_16x16x32_i8 v[124:127], a[136:137], a[24:25], v[124:127]// 000000003A88: D3D7007C 1DF23188
	v_mfma_i32_16x16x32_i8 v[124:127], a[138:139], a[26:27], v[124:127]// 000000003A90: D3D7007C 1DF2358A
	buffer_load_dword v72, s[20:23], 0 offen lds               // 000000003A98: E0511000 80050048
	s_add_u32 m0, 0xd00, s48                                   // 000000003AA0: 807C30FF 00000D00
	v_mfma_i32_16x16x32_i8 v[124:127], a[140:141], a[28:29], v[124:127]// 000000003AA8: D3D7007C 1DF2398C
	v_mfma_i32_16x16x32_i8 v[124:127], a[142:143], a[30:31], v[124:127]// 000000003AB0: D3D7007C 1DF23D8E
	buffer_load_dword v73, s[20:23], 0 offen lds               // 000000003AB8: E0511000 80050049
	s_add_u32 m0, 0xe00, s48                                   // 000000003AC0: 807C30FF 00000E00
	v_mfma_i32_16x16x32_i8 v[128:131], a[136:137], a[32:33], v[128:131]// 000000003AC8: D3D70080 1E024188
	v_mfma_i32_16x16x32_i8 v[128:131], a[138:139], a[34:35], v[128:131]// 000000003AD0: D3D70080 1E02458A
	v_mfma_i32_16x16x32_i8 v[128:131], a[140:141], a[36:37], v[128:131]// 000000003AD8: D3D70080 1E02498C
	v_mfma_i32_16x16x32_i8 v[128:131], a[142:143], a[38:39], v[128:131]// 000000003AE0: D3D70080 1E024D8E
	v_mfma_i32_16x16x32_i8 v[132:135], a[136:137], a[40:41], v[132:135]// 000000003AE8: D3D70084 1E125188
	v_mfma_i32_16x16x32_i8 v[132:135], a[138:139], a[42:43], v[132:135]// 000000003AF0: D3D70084 1E12558A
	buffer_load_dword v74, s[20:23], 0 offen lds               // 000000003AF8: E0511000 8005004A
	s_add_u32 m0, 0xf00, s48                                   // 000000003B00: 807C30FF 00000F00
	v_mfma_i32_16x16x32_i8 v[132:135], a[140:141], a[44:45], v[132:135]// 000000003B08: D3D70084 1E12598C
	v_mfma_i32_16x16x32_i8 v[132:135], a[142:143], a[46:47], v[132:135]// 000000003B10: D3D70084 1E125D8E
	buffer_load_dword v75, s[20:23], 0 offen lds               // 000000003B18: E0511000 8005004B
	s_add_u32 m0, 0, s49                                       // 000000003B20: 807C3180
	v_mfma_i32_16x16x32_i8 v[136:139], a[136:137], a[48:49], v[136:139]// 000000003B24: D3D70088 1E226188
	v_mfma_i32_16x16x32_i8 v[136:139], a[138:139], a[50:51], v[136:139]// 000000003B2C: D3D70088 1E22658A
	v_mfma_i32_16x16x32_i8 v[136:139], a[140:141], a[52:53], v[136:139]// 000000003B34: D3D70088 1E22698C
	v_mfma_i32_16x16x32_i8 v[136:139], a[142:143], a[54:55], v[136:139]// 000000003B3C: D3D70088 1E226D8E
	v_mfma_i32_16x16x32_i8 v[140:143], a[136:137], a[56:57], v[140:143]// 000000003B44: D3D7008C 1E327188
	v_mfma_i32_16x16x32_i8 v[140:143], a[138:139], a[58:59], v[140:143]// 000000003B4C: D3D7008C 1E32758A
	s_add_u32 s60, 0x80, s80                                   // 000000003B54: 803C50FF 00000080
	s_cmp_lt_u32 s60, s81                                      // 000000003B5C: BF0A513C
	s_cselect_b32 s83, s83, 0                                  // 000000003B60: 85538053
	v_mfma_i32_16x16x32_i8 v[140:143], a[140:141], a[60:61], v[140:143]// 000000003B64: D3D7008C 1E32798C
	v_mfma_i32_16x16x32_i8 v[140:143], a[142:143], a[62:63], v[140:143]// 000000003B6C: D3D7008C 1E327D8E
	s_waitcnt vmcnt(16)                                        // 000000003B74: BF8C4F70
	v_mfma_i32_16x16x32_i8 v[144:147], a[144:145], a[0:1], v[144:147]// 000000003B78: D3D70090 1E420190
	v_mfma_i32_16x16x32_i8 v[144:147], a[146:147], a[2:3], v[144:147]// 000000003B80: D3D70090 1E420592
	buffer_load_dwordx4 a[128:131], v76, s[24:27], 0 offen     // 000000003B88: E05C1000 8086804C
	v_mfma_i32_16x16x32_i8 v[144:147], a[148:149], a[4:5], v[144:147]// 000000003B90: D3D70090 1E420994
	v_mfma_i32_16x16x32_i8 v[144:147], a[150:151], a[6:7], v[144:147]// 000000003B98: D3D70090 1E420D96
	ds_read_b128 a[64:67], v2 offset:16512                     // 000000003BA0: DBFE4080 40000002
	ds_read_b128 a[68:71], v2 offset:16576                     // 000000003BA8: DBFE40C0 44000002
	v_mfma_i32_16x16x32_i8 v[176:179], a[152:153], a[0:1], v[176:179]// 000000003BB0: D3D700B0 1EC20198
	v_mfma_i32_16x16x32_i8 v[176:179], a[154:155], a[2:3], v[176:179]// 000000003BB8: D3D700B0 1EC2059A
	buffer_load_dwordx4 a[132:135], v76, s[24:27], 0 offen offset:1024// 000000003BC0: E05C1400 8086844C
	v_mfma_i32_16x16x32_i8 v[176:179], a[156:157], a[4:5], v[176:179]// 000000003BC8: D3D700B0 1EC2099C
	v_mfma_i32_16x16x32_i8 v[176:179], a[158:159], a[6:7], v[176:179]// 000000003BD0: D3D700B0 1EC20D9E
	ds_read_b128 a[72:75], v2 offset:17024                     // 000000003BD8: DBFE4280 48000002
	ds_read_b128 a[76:79], v2 offset:17088                     // 000000003BE0: DBFE42C0 4C000002
	v_mfma_i32_16x16x32_i8 v[148:151], a[144:145], a[8:9], v[148:151]// 000000003BE8: D3D70094 1E521190
	v_mfma_i32_16x16x32_i8 v[148:151], a[146:147], a[10:11], v[148:151]// 000000003BF0: D3D70094 1E521592
	buffer_load_dwordx4 a[136:139], v77, s[24:27], 0 offen     // 000000003BF8: E05C1000 8086884D
	v_mfma_i32_16x16x32_i8 v[148:151], a[148:149], a[12:13], v[148:151]// 000000003C00: D3D70094 1E521994
	v_mfma_i32_16x16x32_i8 v[148:151], a[150:151], a[14:15], v[148:151]// 000000003C08: D3D70094 1E521D96
	ds_read_b128 a[80:83], v2 offset:17536                     // 000000003C10: DBFE4480 50000002
	ds_read_b128 a[84:87], v2 offset:17600                     // 000000003C18: DBFE44C0 54000002
	v_mfma_i32_16x16x32_i8 v[180:183], a[152:153], a[8:9], v[180:183]// 000000003C20: D3D700B4 1ED21198
	v_mfma_i32_16x16x32_i8 v[180:183], a[154:155], a[10:11], v[180:183]// 000000003C28: D3D700B4 1ED2159A
	buffer_load_dwordx4 a[140:143], v77, s[24:27], 0 offen offset:1024// 000000003C30: E05C1400 80868C4D
	v_mfma_i32_16x16x32_i8 v[180:183], a[156:157], a[12:13], v[180:183]// 000000003C38: D3D700B4 1ED2199C
	v_mfma_i32_16x16x32_i8 v[180:183], a[158:159], a[14:15], v[180:183]// 000000003C40: D3D700B4 1ED21D9E
	ds_read_b128 a[88:91], v2 offset:18048                     // 000000003C48: DBFE4680 58000002
	ds_read_b128 a[92:95], v2 offset:18112                     // 000000003C50: DBFE46C0 5C000002
	v_mfma_i32_16x16x32_i8 v[152:155], a[144:145], a[16:17], v[152:155]// 000000003C58: D3D70098 1E622190
	v_mfma_i32_16x16x32_i8 v[152:155], a[146:147], a[18:19], v[152:155]// 000000003C60: D3D70098 1E622592
	v_mfma_i32_16x16x32_i8 v[152:155], a[148:149], a[20:21], v[152:155]// 000000003C68: D3D70098 1E622994
	v_mfma_i32_16x16x32_i8 v[152:155], a[150:151], a[22:23], v[152:155]// 000000003C70: D3D70098 1E622D96
	ds_read_b128 a[96:99], v2 offset:18560                     // 000000003C78: DBFE4880 60000002
	ds_read_b128 a[100:103], v2 offset:18624                   // 000000003C80: DBFE48C0 64000002
	v_mfma_i32_16x16x32_i8 v[184:187], a[152:153], a[16:17], v[184:187]// 000000003C88: D3D700B8 1EE22198
	v_mfma_i32_16x16x32_i8 v[184:187], a[154:155], a[18:19], v[184:187]// 000000003C90: D3D700B8 1EE2259A
	v_mfma_i32_16x16x32_i8 v[184:187], a[156:157], a[20:21], v[184:187]// 000000003C98: D3D700B8 1EE2299C
	v_mfma_i32_16x16x32_i8 v[184:187], a[158:159], a[22:23], v[184:187]// 000000003CA0: D3D700B8 1EE22D9E
	ds_read_b128 a[104:107], v2 offset:19072                   // 000000003CA8: DBFE4A80 68000002
	ds_read_b128 a[108:111], v2 offset:19136                   // 000000003CB0: DBFE4AC0 6C000002
	v_mfma_i32_16x16x32_i8 v[156:159], a[144:145], a[24:25], v[156:159]// 000000003CB8: D3D7009C 1E723190
	v_mfma_i32_16x16x32_i8 v[156:159], a[146:147], a[26:27], v[156:159]// 000000003CC0: D3D7009C 1E723592
	v_mfma_i32_16x16x32_i8 v[156:159], a[148:149], a[28:29], v[156:159]// 000000003CC8: D3D7009C 1E723994
	v_mfma_i32_16x16x32_i8 v[156:159], a[150:151], a[30:31], v[156:159]// 000000003CD0: D3D7009C 1E723D96
	ds_read_b128 a[112:115], v2 offset:19584                   // 000000003CD8: DBFE4C80 70000002
	ds_read_b128 a[116:119], v2 offset:19648                   // 000000003CE0: DBFE4CC0 74000002
	v_mfma_i32_16x16x32_i8 v[188:191], a[152:153], a[24:25], v[188:191]// 000000003CE8: D3D700BC 1EF23198
	v_mfma_i32_16x16x32_i8 v[188:191], a[154:155], a[26:27], v[188:191]// 000000003CF0: D3D700BC 1EF2359A
	v_mfma_i32_16x16x32_i8 v[188:191], a[156:157], a[28:29], v[188:191]// 000000003CF8: D3D700BC 1EF2399C
	v_mfma_i32_16x16x32_i8 v[188:191], a[158:159], a[30:31], v[188:191]// 000000003D00: D3D700BC 1EF23D9E
	ds_read_b128 a[120:123], v2 offset:20096                   // 000000003D08: DBFE4E80 78000002
	ds_read_b128 a[124:127], v2 offset:20160                   // 000000003D10: DBFE4EC0 7C000002
	v_mfma_i32_16x16x32_i8 v[160:163], a[144:145], a[32:33], v[160:163]// 000000003D18: D3D700A0 1E824190
	v_mfma_i32_16x16x32_i8 v[160:163], a[146:147], a[34:35], v[160:163]// 000000003D20: D3D700A0 1E824592
	v_mfma_i32_16x16x32_i8 v[160:163], a[148:149], a[36:37], v[160:163]// 000000003D28: D3D700A0 1E824994
	v_mfma_i32_16x16x32_i8 v[160:163], a[150:151], a[38:39], v[160:163]// 000000003D30: D3D700A0 1E824D96
	v_mfma_i32_16x16x32_i8 v[192:195], a[152:153], a[32:33], v[192:195]// 000000003D38: D3D700C0 1F024198
	v_mfma_i32_16x16x32_i8 v[192:195], a[154:155], a[34:35], v[192:195]// 000000003D40: D3D700C0 1F02459A
	v_mfma_i32_16x16x32_i8 v[192:195], a[156:157], a[36:37], v[192:195]// 000000003D48: D3D700C0 1F02499C
	v_mfma_i32_16x16x32_i8 v[192:195], a[158:159], a[38:39], v[192:195]// 000000003D50: D3D700C0 1F024D9E
	v_mfma_i32_16x16x32_i8 v[164:167], a[144:145], a[40:41], v[164:167]// 000000003D58: D3D700A4 1E925190
	v_mfma_i32_16x16x32_i8 v[164:167], a[146:147], a[42:43], v[164:167]// 000000003D60: D3D700A4 1E925592
	v_mfma_i32_16x16x32_i8 v[164:167], a[148:149], a[44:45], v[164:167]// 000000003D68: D3D700A4 1E925994
	v_mfma_i32_16x16x32_i8 v[164:167], a[150:151], a[46:47], v[164:167]// 000000003D70: D3D700A4 1E925D96
	v_mfma_i32_16x16x32_i8 v[196:199], a[152:153], a[40:41], v[196:199]// 000000003D78: D3D700C4 1F125198
	v_mfma_i32_16x16x32_i8 v[196:199], a[154:155], a[42:43], v[196:199]// 000000003D80: D3D700C4 1F12559A
	v_mfma_i32_16x16x32_i8 v[196:199], a[156:157], a[44:45], v[196:199]// 000000003D88: D3D700C4 1F12599C
	v_mfma_i32_16x16x32_i8 v[196:199], a[158:159], a[46:47], v[196:199]// 000000003D90: D3D700C4 1F125D9E
	v_mfma_i32_16x16x32_i8 v[168:171], a[144:145], a[48:49], v[168:171]// 000000003D98: D3D700A8 1EA26190
	v_mfma_i32_16x16x32_i8 v[168:171], a[146:147], a[50:51], v[168:171]// 000000003DA0: D3D700A8 1EA26592
	v_mfma_i32_16x16x32_i8 v[168:171], a[148:149], a[52:53], v[168:171]// 000000003DA8: D3D700A8 1EA26994
	v_mfma_i32_16x16x32_i8 v[168:171], a[150:151], a[54:55], v[168:171]// 000000003DB0: D3D700A8 1EA26D96
	v_mfma_i32_16x16x32_i8 v[200:203], a[152:153], a[48:49], v[200:203]// 000000003DB8: D3D700C8 1F226198
	v_mfma_i32_16x16x32_i8 v[200:203], a[154:155], a[50:51], v[200:203]// 000000003DC0: D3D700C8 1F22659A
	v_mfma_i32_16x16x32_i8 v[200:203], a[156:157], a[52:53], v[200:203]// 000000003DC8: D3D700C8 1F22699C
	v_mfma_i32_16x16x32_i8 v[200:203], a[158:159], a[54:55], v[200:203]// 000000003DD0: D3D700C8 1F226D9E
	v_mfma_i32_16x16x32_i8 v[172:175], a[144:145], a[56:57], v[172:175]// 000000003DD8: D3D700AC 1EB27190
	v_mfma_i32_16x16x32_i8 v[172:175], a[146:147], a[58:59], v[172:175]// 000000003DE0: D3D700AC 1EB27592
	v_mfma_i32_16x16x32_i8 v[172:175], a[148:149], a[60:61], v[172:175]// 000000003DE8: D3D700AC 1EB27994
	s_add_u32 s60, 0x180, s80                                  // 000000003DF0: 803C50FF 00000180
	s_cmp_lt_u32 s60, s81                                      // 000000003DF8: BF0A513C
	s_cselect_b32 s57, s57, 0                                  // 000000003DFC: 85398039
	v_mfma_i32_16x16x32_i8 v[172:175], a[150:151], a[62:63], v[172:175]// 000000003E00: D3D700AC 1EB27D96
	s_add_u32 s60, 0x100, s80                                  // 000000003E08: 803C50FF 00000100
	s_cmp_lt_u32 s60, s81                                      // 000000003E10: BF0A513C
	s_cselect_b32 s58, s58, 0                                  // 000000003E14: 853A803A
	v_mfma_i32_16x16x32_i8 v[204:207], a[152:153], a[56:57], v[204:207]// 000000003E18: D3D700CC 1F327198
	s_add_u32 s24, s58, s24                                    // 000000003E20: 8018183A
	s_addc_u32 s25, 0, s25                                     // 000000003E24: 82191980
	v_mfma_i32_16x16x32_i8 v[204:207], a[154:155], a[58:59], v[204:207]// 000000003E28: D3D700CC 1F32759A
	s_add_u32 s20, s57, s20                                    // 000000003E30: 80141439
	s_addc_u32 s21, 0, s21                                     // 000000003E34: 82151580
	v_mfma_i32_16x16x32_i8 v[204:207], a[156:157], a[60:61], v[204:207]// 000000003E38: D3D700CC 1F32799C
	s_add_u32 s84, s83, s84                                    // 000000003E40: 80545453
	s_addc_u32 s85, 0, s85                                     // 000000003E44: 82555580
	v_mfma_i32_16x16x32_i8 v[204:207], a[158:159], a[62:63], v[204:207]// 000000003E48: D3D700CC 1F327D9E
	s_addk_i32 s80, 0x80                                       // 000000003E50: B7500080
	s_cmp_lt_i32 s80, s81                                      // 000000003E54: BF045150
	s_cbranch_scc0 label_06A0                                  // 000000003E58: BF840189
	s_waitcnt vmcnt(2) lgkmcnt(0)                              // 000000003E5C: BF8C0072
	s_barrier                                                  // 000000003E60: BF8A0000
	v_mfma_i32_16x16x32_i8 v[80:83], a[128:129], a[64:65], v[80:83]// 000000003E64: D3D70050 1D428180
	v_mfma_i32_16x16x32_i8 v[80:83], a[130:131], a[66:67], v[80:83]// 000000003E6C: D3D70050 1D428582
	buffer_load_dwordx4 a[144:147], v76, s[84:87], 0 offen     // 000000003E74: E05C1000 8095904C
	v_mfma_i32_16x16x32_i8 v[80:83], a[132:133], a[68:69], v[80:83]// 000000003E7C: D3D70050 1D428984
	v_mfma_i32_16x16x32_i8 v[80:83], a[134:135], a[70:71], v[80:83]// 000000003E84: D3D70050 1D428D86
	v_mfma_i32_16x16x32_i8 v[84:87], a[128:129], a[72:73], v[84:87]// 000000003E8C: D3D70054 1D529180
	v_mfma_i32_16x16x32_i8 v[84:87], a[130:131], a[74:75], v[84:87]// 000000003E94: D3D70054 1D529582
	buffer_load_dwordx4 a[148:151], v76, s[84:87], 0 offen offset:1024// 000000003E9C: E05C1400 8095944C
	v_mfma_i32_16x16x32_i8 v[84:87], a[132:133], a[76:77], v[84:87]// 000000003EA4: D3D70054 1D529984
	v_mfma_i32_16x16x32_i8 v[84:87], a[134:135], a[78:79], v[84:87]// 000000003EAC: D3D70054 1D529D86
	v_mfma_i32_16x16x32_i8 v[88:91], a[128:129], a[80:81], v[88:91]// 000000003EB4: D3D70058 1D62A180
	v_mfma_i32_16x16x32_i8 v[88:91], a[130:131], a[82:83], v[88:91]// 000000003EBC: D3D70058 1D62A582
	buffer_load_dwordx4 a[152:155], v77, s[84:87], 0 offen     // 000000003EC4: E05C1000 8095984D
	v_mfma_i32_16x16x32_i8 v[88:91], a[132:133], a[84:85], v[88:91]// 000000003ECC: D3D70058 1D62A984
	v_mfma_i32_16x16x32_i8 v[88:91], a[134:135], a[86:87], v[88:91]// 000000003ED4: D3D70058 1D62AD86
	v_mfma_i32_16x16x32_i8 v[92:95], a[128:129], a[88:89], v[92:95]// 000000003EDC: D3D7005C 1D72B180
	v_mfma_i32_16x16x32_i8 v[92:95], a[130:131], a[90:91], v[92:95]// 000000003EE4: D3D7005C 1D72B582
	buffer_load_dwordx4 a[156:159], v77, s[84:87], 0 offen offset:1024// 000000003EEC: E05C1400 80959C4D
	buffer_load_dword v60, s[20:23], 0 offen lds               // 000000003EF4: E0511000 8005003C
	s_add_u32 m0, 0x100, s49                                   // 000000003EFC: 807C31FF 00000100
	v_mfma_i32_16x16x32_i8 v[92:95], a[132:133], a[92:93], v[92:95]// 000000003F04: D3D7005C 1D72B984
	v_mfma_i32_16x16x32_i8 v[92:95], a[134:135], a[94:95], v[92:95]// 000000003F0C: D3D7005C 1D72BD86
	buffer_load_dword v61, s[20:23], 0 offen lds               // 000000003F14: E0511000 8005003D
	s_add_u32 m0, 0x200, s49                                   // 000000003F1C: 807C31FF 00000200
	v_mfma_i32_16x16x32_i8 v[96:99], a[128:129], a[96:97], v[96:99]// 000000003F24: D3D70060 1D82C180
	v_mfma_i32_16x16x32_i8 v[96:99], a[130:131], a[98:99], v[96:99]// 000000003F2C: D3D70060 1D82C582
	v_mfma_i32_16x16x32_i8 v[96:99], a[132:133], a[100:101], v[96:99]// 000000003F34: D3D70060 1D82C984
	v_mfma_i32_16x16x32_i8 v[96:99], a[134:135], a[102:103], v[96:99]// 000000003F3C: D3D70060 1D82CD86
	v_mfma_i32_16x16x32_i8 v[100:103], a[128:129], a[104:105], v[100:103]// 000000003F44: D3D70064 1D92D180
	v_mfma_i32_16x16x32_i8 v[100:103], a[130:131], a[106:107], v[100:103]// 000000003F4C: D3D70064 1D92D582
	buffer_load_dword v62, s[20:23], 0 offen lds               // 000000003F54: E0511000 8005003E
	s_add_u32 m0, 0x300, s49                                   // 000000003F5C: 807C31FF 00000300
	v_mfma_i32_16x16x32_i8 v[100:103], a[132:133], a[108:109], v[100:103]// 000000003F64: D3D70064 1D92D984
	v_mfma_i32_16x16x32_i8 v[100:103], a[134:135], a[110:111], v[100:103]// 000000003F6C: D3D70064 1D92DD86
	buffer_load_dword v63, s[20:23], 0 offen lds               // 000000003F74: E0511000 8005003F
	s_add_u32 m0, 0x400, s49                                   // 000000003F7C: 807C31FF 00000400
	v_mfma_i32_16x16x32_i8 v[104:107], a[128:129], a[112:113], v[104:107]// 000000003F84: D3D70068 1DA2E180
	v_mfma_i32_16x16x32_i8 v[104:107], a[130:131], a[114:115], v[104:107]// 000000003F8C: D3D70068 1DA2E582
	v_mfma_i32_16x16x32_i8 v[104:107], a[132:133], a[116:117], v[104:107]// 000000003F94: D3D70068 1DA2E984
	v_mfma_i32_16x16x32_i8 v[104:107], a[134:135], a[118:119], v[104:107]// 000000003F9C: D3D70068 1DA2ED86
	v_mfma_i32_16x16x32_i8 v[108:111], a[128:129], a[120:121], v[108:111]// 000000003FA4: D3D7006C 1DB2F180
	v_mfma_i32_16x16x32_i8 v[108:111], a[130:131], a[122:123], v[108:111]// 000000003FAC: D3D7006C 1DB2F582
	buffer_load_dword v64, s[20:23], 0 offen lds               // 000000003FB4: E0511000 80050040
	s_add_u32 m0, 0x500, s49                                   // 000000003FBC: 807C31FF 00000500
	v_mfma_i32_16x16x32_i8 v[108:111], a[132:133], a[124:125], v[108:111]// 000000003FC4: D3D7006C 1DB2F984
	v_mfma_i32_16x16x32_i8 v[108:111], a[134:135], a[126:127], v[108:111]// 000000003FCC: D3D7006C 1DB2FD86
	buffer_load_dword v65, s[20:23], 0 offen lds               // 000000003FD4: E0511000 80050041
	s_add_u32 m0, 0x600, s49                                   // 000000003FDC: 807C31FF 00000600
	s_waitcnt vmcnt(10)                                        // 000000003FE4: BF8C0F7A
	v_mfma_i32_16x16x32_i8 v[112:115], a[136:137], a[64:65], v[112:115]// 000000003FE8: D3D70070 1DC28188
	v_mfma_i32_16x16x32_i8 v[112:115], a[138:139], a[66:67], v[112:115]// 000000003FF0: D3D70070 1DC2858A
	buffer_load_dword v66, s[20:23], 0 offen lds               // 000000003FF8: E0511000 80050042
	s_add_u32 m0, 0x700, s49                                   // 000000004000: 807C31FF 00000700
	v_mfma_i32_16x16x32_i8 v[112:115], a[140:141], a[68:69], v[112:115]// 000000004008: D3D70070 1DC2898C
	v_mfma_i32_16x16x32_i8 v[112:115], a[142:143], a[70:71], v[112:115]// 000000004010: D3D70070 1DC28D8E
	buffer_load_dword v67, s[20:23], 0 offen lds               // 000000004018: E0511000 80050043
	s_add_u32 m0, 0x800, s49                                   // 000000004020: 807C31FF 00000800
	v_mfma_i32_16x16x32_i8 v[116:119], a[136:137], a[72:73], v[116:119]// 000000004028: D3D70074 1DD29188
	v_mfma_i32_16x16x32_i8 v[116:119], a[138:139], a[74:75], v[116:119]// 000000004030: D3D70074 1DD2958A
	buffer_load_dword v68, s[20:23], 0 offen lds               // 000000004038: E0511000 80050044
	s_add_u32 m0, 0x900, s49                                   // 000000004040: 807C31FF 00000900
	v_mfma_i32_16x16x32_i8 v[116:119], a[140:141], a[76:77], v[116:119]// 000000004048: D3D70074 1DD2998C
	v_mfma_i32_16x16x32_i8 v[116:119], a[142:143], a[78:79], v[116:119]// 000000004050: D3D70074 1DD29D8E
	buffer_load_dword v69, s[20:23], 0 offen lds               // 000000004058: E0511000 80050045
	s_add_u32 m0, 0xa00, s49                                   // 000000004060: 807C31FF 00000A00
	v_mfma_i32_16x16x32_i8 v[120:123], a[136:137], a[80:81], v[120:123]// 000000004068: D3D70078 1DE2A188
	v_mfma_i32_16x16x32_i8 v[120:123], a[138:139], a[82:83], v[120:123]// 000000004070: D3D70078 1DE2A58A
	buffer_load_dword v70, s[20:23], 0 offen lds               // 000000004078: E0511000 80050046
	s_add_u32 m0, 0xb00, s49                                   // 000000004080: 807C31FF 00000B00
	v_mfma_i32_16x16x32_i8 v[120:123], a[140:141], a[84:85], v[120:123]// 000000004088: D3D70078 1DE2A98C
	v_mfma_i32_16x16x32_i8 v[120:123], a[142:143], a[86:87], v[120:123]// 000000004090: D3D70078 1DE2AD8E
	buffer_load_dword v71, s[20:23], 0 offen lds               // 000000004098: E0511000 80050047
	s_add_u32 m0, 0xc00, s49                                   // 0000000040A0: 807C31FF 00000C00
	v_mfma_i32_16x16x32_i8 v[124:127], a[136:137], a[88:89], v[124:127]// 0000000040A8: D3D7007C 1DF2B188
	v_mfma_i32_16x16x32_i8 v[124:127], a[138:139], a[90:91], v[124:127]// 0000000040B0: D3D7007C 1DF2B58A
	buffer_load_dword v72, s[20:23], 0 offen lds               // 0000000040B8: E0511000 80050048
	s_add_u32 m0, 0xd00, s49                                   // 0000000040C0: 807C31FF 00000D00
	v_mfma_i32_16x16x32_i8 v[124:127], a[140:141], a[92:93], v[124:127]// 0000000040C8: D3D7007C 1DF2B98C
	v_mfma_i32_16x16x32_i8 v[124:127], a[142:143], a[94:95], v[124:127]// 0000000040D0: D3D7007C 1DF2BD8E
	buffer_load_dword v73, s[20:23], 0 offen lds               // 0000000040D8: E0511000 80050049
	s_add_u32 m0, 0xe00, s49                                   // 0000000040E0: 807C31FF 00000E00
	v_mfma_i32_16x16x32_i8 v[128:131], a[136:137], a[96:97], v[128:131]// 0000000040E8: D3D70080 1E02C188
	v_mfma_i32_16x16x32_i8 v[128:131], a[138:139], a[98:99], v[128:131]// 0000000040F0: D3D70080 1E02C58A
	v_mfma_i32_16x16x32_i8 v[128:131], a[140:141], a[100:101], v[128:131]// 0000000040F8: D3D70080 1E02C98C
	v_mfma_i32_16x16x32_i8 v[128:131], a[142:143], a[102:103], v[128:131]// 000000004100: D3D70080 1E02CD8E
	v_mfma_i32_16x16x32_i8 v[132:135], a[136:137], a[104:105], v[132:135]// 000000004108: D3D70084 1E12D188
	v_mfma_i32_16x16x32_i8 v[132:135], a[138:139], a[106:107], v[132:135]// 000000004110: D3D70084 1E12D58A
	buffer_load_dword v74, s[20:23], 0 offen lds               // 000000004118: E0511000 8005004A
	s_add_u32 m0, 0xf00, s49                                   // 000000004120: 807C31FF 00000F00
	v_mfma_i32_16x16x32_i8 v[132:135], a[140:141], a[108:109], v[132:135]// 000000004128: D3D70084 1E12D98C
	v_mfma_i32_16x16x32_i8 v[132:135], a[142:143], a[110:111], v[132:135]// 000000004130: D3D70084 1E12DD8E
	buffer_load_dword v75, s[20:23], 0 offen lds               // 000000004138: E0511000 8005004B
	s_add_u32 m0, 0, s48                                       // 000000004140: 807C3080
	v_mfma_i32_16x16x32_i8 v[136:139], a[136:137], a[112:113], v[136:139]// 000000004144: D3D70088 1E22E188
	v_mfma_i32_16x16x32_i8 v[136:139], a[138:139], a[114:115], v[136:139]// 00000000414C: D3D70088 1E22E58A
	v_mfma_i32_16x16x32_i8 v[136:139], a[140:141], a[116:117], v[136:139]// 000000004154: D3D70088 1E22E98C
	v_mfma_i32_16x16x32_i8 v[136:139], a[142:143], a[118:119], v[136:139]// 00000000415C: D3D70088 1E22ED8E
	v_mfma_i32_16x16x32_i8 v[140:143], a[136:137], a[120:121], v[140:143]// 000000004164: D3D7008C 1E32F188
	v_mfma_i32_16x16x32_i8 v[140:143], a[138:139], a[122:123], v[140:143]// 00000000416C: D3D7008C 1E32F58A
	s_add_u32 s60, 0x80, s80                                   // 000000004174: 803C50FF 00000080
	s_cmp_lt_u32 s60, s81                                      // 00000000417C: BF0A513C
	s_cselect_b32 s83, s83, 0                                  // 000000004180: 85538053
	v_mfma_i32_16x16x32_i8 v[140:143], a[140:141], a[124:125], v[140:143]// 000000004184: D3D7008C 1E32F98C
	v_mfma_i32_16x16x32_i8 v[140:143], a[142:143], a[126:127], v[140:143]// 00000000418C: D3D7008C 1E32FD8E
	s_waitcnt vmcnt(16)                                        // 000000004194: BF8C4F70
	v_mfma_i32_16x16x32_i8 v[144:147], a[144:145], a[64:65], v[144:147]// 000000004198: D3D70090 1E428190
	v_mfma_i32_16x16x32_i8 v[144:147], a[146:147], a[66:67], v[144:147]// 0000000041A0: D3D70090 1E428592
	buffer_load_dwordx4 a[128:131], v76, s[24:27], 0 offen     // 0000000041A8: E05C1000 8086804C
	v_mfma_i32_16x16x32_i8 v[144:147], a[148:149], a[68:69], v[144:147]// 0000000041B0: D3D70090 1E428994
	v_mfma_i32_16x16x32_i8 v[144:147], a[150:151], a[70:71], v[144:147]// 0000000041B8: D3D70090 1E428D96
	ds_read_b128 a[0:3], v2                                    // 0000000041C0: DBFE0000 00000002
	ds_read_b128 a[4:7], v2 offset:64                          // 0000000041C8: DBFE0040 04000002
	v_mfma_i32_16x16x32_i8 v[176:179], a[152:153], a[64:65], v[176:179]// 0000000041D0: D3D700B0 1EC28198
	v_mfma_i32_16x16x32_i8 v[176:179], a[154:155], a[66:67], v[176:179]// 0000000041D8: D3D700B0 1EC2859A
	buffer_load_dwordx4 a[132:135], v76, s[24:27], 0 offen offset:1024// 0000000041E0: E05C1400 8086844C
	v_mfma_i32_16x16x32_i8 v[176:179], a[156:157], a[68:69], v[176:179]// 0000000041E8: D3D700B0 1EC2899C
	v_mfma_i32_16x16x32_i8 v[176:179], a[158:159], a[70:71], v[176:179]// 0000000041F0: D3D700B0 1EC28D9E
	ds_read_b128 a[8:11], v2 offset:512                        // 0000000041F8: DBFE0200 08000002
	ds_read_b128 a[12:15], v2 offset:576                       // 000000004200: DBFE0240 0C000002
	v_mfma_i32_16x16x32_i8 v[148:151], a[144:145], a[72:73], v[148:151]// 000000004208: D3D70094 1E529190
	v_mfma_i32_16x16x32_i8 v[148:151], a[146:147], a[74:75], v[148:151]// 000000004210: D3D70094 1E529592
	buffer_load_dwordx4 a[136:139], v77, s[24:27], 0 offen     // 000000004218: E05C1000 8086884D
	v_mfma_i32_16x16x32_i8 v[148:151], a[148:149], a[76:77], v[148:151]// 000000004220: D3D70094 1E529994
	v_mfma_i32_16x16x32_i8 v[148:151], a[150:151], a[78:79], v[148:151]// 000000004228: D3D70094 1E529D96
	ds_read_b128 a[16:19], v2 offset:1024                      // 000000004230: DBFE0400 10000002
	ds_read_b128 a[20:23], v2 offset:1088                      // 000000004238: DBFE0440 14000002
	v_mfma_i32_16x16x32_i8 v[180:183], a[152:153], a[72:73], v[180:183]// 000000004240: D3D700B4 1ED29198
	v_mfma_i32_16x16x32_i8 v[180:183], a[154:155], a[74:75], v[180:183]// 000000004248: D3D700B4 1ED2959A
	buffer_load_dwordx4 a[140:143], v77, s[24:27], 0 offen offset:1024// 000000004250: E05C1400 80868C4D
	v_mfma_i32_16x16x32_i8 v[180:183], a[156:157], a[76:77], v[180:183]// 000000004258: D3D700B4 1ED2999C
	v_mfma_i32_16x16x32_i8 v[180:183], a[158:159], a[78:79], v[180:183]// 000000004260: D3D700B4 1ED29D9E
	ds_read_b128 a[24:27], v2 offset:1536                      // 000000004268: DBFE0600 18000002
	ds_read_b128 a[28:31], v2 offset:1600                      // 000000004270: DBFE0640 1C000002
	v_mfma_i32_16x16x32_i8 v[152:155], a[144:145], a[80:81], v[152:155]// 000000004278: D3D70098 1E62A190
	v_mfma_i32_16x16x32_i8 v[152:155], a[146:147], a[82:83], v[152:155]// 000000004280: D3D70098 1E62A592
	v_mfma_i32_16x16x32_i8 v[152:155], a[148:149], a[84:85], v[152:155]// 000000004288: D3D70098 1E62A994
	v_mfma_i32_16x16x32_i8 v[152:155], a[150:151], a[86:87], v[152:155]// 000000004290: D3D70098 1E62AD96
	ds_read_b128 a[32:35], v2 offset:2048                      // 000000004298: DBFE0800 20000002
	ds_read_b128 a[36:39], v2 offset:2112                      // 0000000042A0: DBFE0840 24000002
	v_mfma_i32_16x16x32_i8 v[184:187], a[152:153], a[80:81], v[184:187]// 0000000042A8: D3D700B8 1EE2A198
	v_mfma_i32_16x16x32_i8 v[184:187], a[154:155], a[82:83], v[184:187]// 0000000042B0: D3D700B8 1EE2A59A
	v_mfma_i32_16x16x32_i8 v[184:187], a[156:157], a[84:85], v[184:187]// 0000000042B8: D3D700B8 1EE2A99C
	v_mfma_i32_16x16x32_i8 v[184:187], a[158:159], a[86:87], v[184:187]// 0000000042C0: D3D700B8 1EE2AD9E
	ds_read_b128 a[40:43], v2 offset:2560                      // 0000000042C8: DBFE0A00 28000002
	ds_read_b128 a[44:47], v2 offset:2624                      // 0000000042D0: DBFE0A40 2C000002
	v_mfma_i32_16x16x32_i8 v[156:159], a[144:145], a[88:89], v[156:159]// 0000000042D8: D3D7009C 1E72B190
	v_mfma_i32_16x16x32_i8 v[156:159], a[146:147], a[90:91], v[156:159]// 0000000042E0: D3D7009C 1E72B592
	v_mfma_i32_16x16x32_i8 v[156:159], a[148:149], a[92:93], v[156:159]// 0000000042E8: D3D7009C 1E72B994
	v_mfma_i32_16x16x32_i8 v[156:159], a[150:151], a[94:95], v[156:159]// 0000000042F0: D3D7009C 1E72BD96
	ds_read_b128 a[48:51], v2 offset:3072                      // 0000000042F8: DBFE0C00 30000002
	ds_read_b128 a[52:55], v2 offset:3136                      // 000000004300: DBFE0C40 34000002
	v_mfma_i32_16x16x32_i8 v[188:191], a[152:153], a[88:89], v[188:191]// 000000004308: D3D700BC 1EF2B198
	v_mfma_i32_16x16x32_i8 v[188:191], a[154:155], a[90:91], v[188:191]// 000000004310: D3D700BC 1EF2B59A
	v_mfma_i32_16x16x32_i8 v[188:191], a[156:157], a[92:93], v[188:191]// 000000004318: D3D700BC 1EF2B99C
	v_mfma_i32_16x16x32_i8 v[188:191], a[158:159], a[94:95], v[188:191]// 000000004320: D3D700BC 1EF2BD9E
	ds_read_b128 a[56:59], v2 offset:3584                      // 000000004328: DBFE0E00 38000002
	ds_read_b128 a[60:63], v2 offset:3648                      // 000000004330: DBFE0E40 3C000002
	v_mfma_i32_16x16x32_i8 v[160:163], a[144:145], a[96:97], v[160:163]// 000000004338: D3D700A0 1E82C190
	v_mfma_i32_16x16x32_i8 v[160:163], a[146:147], a[98:99], v[160:163]// 000000004340: D3D700A0 1E82C592
	v_mfma_i32_16x16x32_i8 v[160:163], a[148:149], a[100:101], v[160:163]// 000000004348: D3D700A0 1E82C994
	v_mfma_i32_16x16x32_i8 v[160:163], a[150:151], a[102:103], v[160:163]// 000000004350: D3D700A0 1E82CD96
	v_mfma_i32_16x16x32_i8 v[192:195], a[152:153], a[96:97], v[192:195]// 000000004358: D3D700C0 1F02C198
	v_mfma_i32_16x16x32_i8 v[192:195], a[154:155], a[98:99], v[192:195]// 000000004360: D3D700C0 1F02C59A
	v_mfma_i32_16x16x32_i8 v[192:195], a[156:157], a[100:101], v[192:195]// 000000004368: D3D700C0 1F02C99C
	v_mfma_i32_16x16x32_i8 v[192:195], a[158:159], a[102:103], v[192:195]// 000000004370: D3D700C0 1F02CD9E
	v_mfma_i32_16x16x32_i8 v[164:167], a[144:145], a[104:105], v[164:167]// 000000004378: D3D700A4 1E92D190
	v_mfma_i32_16x16x32_i8 v[164:167], a[146:147], a[106:107], v[164:167]// 000000004380: D3D700A4 1E92D592
	v_mfma_i32_16x16x32_i8 v[164:167], a[148:149], a[108:109], v[164:167]// 000000004388: D3D700A4 1E92D994
	v_mfma_i32_16x16x32_i8 v[164:167], a[150:151], a[110:111], v[164:167]// 000000004390: D3D700A4 1E92DD96
	v_mfma_i32_16x16x32_i8 v[196:199], a[152:153], a[104:105], v[196:199]// 000000004398: D3D700C4 1F12D198
	v_mfma_i32_16x16x32_i8 v[196:199], a[154:155], a[106:107], v[196:199]// 0000000043A0: D3D700C4 1F12D59A
	v_mfma_i32_16x16x32_i8 v[196:199], a[156:157], a[108:109], v[196:199]// 0000000043A8: D3D700C4 1F12D99C
	v_mfma_i32_16x16x32_i8 v[196:199], a[158:159], a[110:111], v[196:199]// 0000000043B0: D3D700C4 1F12DD9E
	v_mfma_i32_16x16x32_i8 v[168:171], a[144:145], a[112:113], v[168:171]// 0000000043B8: D3D700A8 1EA2E190
	v_mfma_i32_16x16x32_i8 v[168:171], a[146:147], a[114:115], v[168:171]// 0000000043C0: D3D700A8 1EA2E592
	v_mfma_i32_16x16x32_i8 v[168:171], a[148:149], a[116:117], v[168:171]// 0000000043C8: D3D700A8 1EA2E994
	v_mfma_i32_16x16x32_i8 v[168:171], a[150:151], a[118:119], v[168:171]// 0000000043D0: D3D700A8 1EA2ED96
	v_mfma_i32_16x16x32_i8 v[200:203], a[152:153], a[112:113], v[200:203]// 0000000043D8: D3D700C8 1F22E198
	v_mfma_i32_16x16x32_i8 v[200:203], a[154:155], a[114:115], v[200:203]// 0000000043E0: D3D700C8 1F22E59A
	v_mfma_i32_16x16x32_i8 v[200:203], a[156:157], a[116:117], v[200:203]// 0000000043E8: D3D700C8 1F22E99C
	v_mfma_i32_16x16x32_i8 v[200:203], a[158:159], a[118:119], v[200:203]// 0000000043F0: D3D700C8 1F22ED9E
	v_mfma_i32_16x16x32_i8 v[172:175], a[144:145], a[120:121], v[172:175]// 0000000043F8: D3D700AC 1EB2F190
	v_mfma_i32_16x16x32_i8 v[172:175], a[146:147], a[122:123], v[172:175]// 000000004400: D3D700AC 1EB2F592
	v_mfma_i32_16x16x32_i8 v[172:175], a[148:149], a[124:125], v[172:175]// 000000004408: D3D700AC 1EB2F994
	s_add_u32 s60, 0x180, s80                                  // 000000004410: 803C50FF 00000180
	s_cmp_lt_u32 s60, s81                                      // 000000004418: BF0A513C
	s_cselect_b32 s57, s57, 0                                  // 00000000441C: 85398039
	v_mfma_i32_16x16x32_i8 v[172:175], a[150:151], a[126:127], v[172:175]// 000000004420: D3D700AC 1EB2FD96
	s_add_u32 s60, 0x100, s80                                  // 000000004428: 803C50FF 00000100
	s_cmp_lt_u32 s60, s81                                      // 000000004430: BF0A513C
	s_cselect_b32 s58, s58, 0                                  // 000000004434: 853A803A
	v_mfma_i32_16x16x32_i8 v[204:207], a[152:153], a[120:121], v[204:207]// 000000004438: D3D700CC 1F32F198
	s_add_u32 s24, s58, s24                                    // 000000004440: 8018183A
	s_addc_u32 s25, 0, s25                                     // 000000004444: 82191980
	v_mfma_i32_16x16x32_i8 v[204:207], a[154:155], a[122:123], v[204:207]// 000000004448: D3D700CC 1F32F59A
	s_add_u32 s20, s57, s20                                    // 000000004450: 80141439
	s_addc_u32 s21, 0, s21                                     // 000000004454: 82151580
	v_mfma_i32_16x16x32_i8 v[204:207], a[156:157], a[124:125], v[204:207]// 000000004458: D3D700CC 1F32F99C
	s_add_u32 s84, s83, s84                                    // 000000004460: 80545453
	s_addc_u32 s85, 0, s85                                     // 000000004464: 82555580
	v_mfma_i32_16x16x32_i8 v[204:207], a[158:159], a[126:127], v[204:207]// 000000004468: D3D700CC 1F32FD9E
	s_addk_i32 s80, 0x80                                       // 000000004470: B7500080
	s_cmp_lt_i32 s80, s81                                      // 000000004474: BF045150
	s_cbranch_scc0 label_06A0                                  // 000000004478: BF840001
	s_branch label_038F                                        // 00000000447C: BF82FCEF

0000000000004480 <label_06A0>:
	v_cvt_f32_i32_e32 v80, v80                                 // 000000004480: 7EA00B50
	v_cvt_f32_i32_e32 v81, v81                                 // 000000004484: 7EA20B51
	v_cvt_f32_i32_e32 v82, v82                                 // 000000004488: 7EA40B52
	v_cvt_f32_i32_e32 v83, v83                                 // 00000000448C: 7EA60B53
	v_mul_f32_dpp v80, v24, v80 row_newbcast:0 row_mask:0xf bank_mask:0xf// 000000004490: 0AA0A0FA FF015018
	v_mul_f32_dpp v81, v24, v81 row_newbcast:1 row_mask:0xf bank_mask:0xf// 000000004498: 0AA2A2FA FF015118
	v_mul_f32_dpp v82, v24, v82 row_newbcast:2 row_mask:0xf bank_mask:0xf// 0000000044A0: 0AA4A4FA FF015218
	v_mul_f32_dpp v83, v24, v83 row_newbcast:3 row_mask:0xf bank_mask:0xf// 0000000044A8: 0AA6A6FA FF015318
	v_cvt_f32_i32_e32 v84, v84                                 // 0000000044B0: 7EA80B54
	v_cvt_f32_i32_e32 v85, v85                                 // 0000000044B4: 7EAA0B55
	v_cvt_f32_i32_e32 v86, v86                                 // 0000000044B8: 7EAC0B56
	v_cvt_f32_i32_e32 v87, v87                                 // 0000000044BC: 7EAE0B57
	v_mul_f32_dpp v84, v24, v84 row_newbcast:0 row_mask:0xf bank_mask:0xf// 0000000044C0: 0AA8A8FA FF015018
	v_mul_f32_dpp v85, v24, v85 row_newbcast:1 row_mask:0xf bank_mask:0xf// 0000000044C8: 0AAAAAFA FF015118
	v_mul_f32_dpp v86, v24, v86 row_newbcast:2 row_mask:0xf bank_mask:0xf// 0000000044D0: 0AACACFA FF015218
	v_mul_f32_dpp v87, v24, v87 row_newbcast:3 row_mask:0xf bank_mask:0xf// 0000000044D8: 0AAEAEFA FF015318
	v_cvt_f32_i32_e32 v88, v88                                 // 0000000044E0: 7EB00B58
	v_cvt_f32_i32_e32 v89, v89                                 // 0000000044E4: 7EB20B59
	v_cvt_f32_i32_e32 v90, v90                                 // 0000000044E8: 7EB40B5A
	v_cvt_f32_i32_e32 v91, v91                                 // 0000000044EC: 7EB60B5B
	v_mul_f32_dpp v88, v24, v88 row_newbcast:0 row_mask:0xf bank_mask:0xf// 0000000044F0: 0AB0B0FA FF015018
	v_mul_f32_dpp v89, v24, v89 row_newbcast:1 row_mask:0xf bank_mask:0xf// 0000000044F8: 0AB2B2FA FF015118
	v_mul_f32_dpp v90, v24, v90 row_newbcast:2 row_mask:0xf bank_mask:0xf// 000000004500: 0AB4B4FA FF015218
	v_mul_f32_dpp v91, v24, v91 row_newbcast:3 row_mask:0xf bank_mask:0xf// 000000004508: 0AB6B6FA FF015318
	v_cvt_f32_i32_e32 v92, v92                                 // 000000004510: 7EB80B5C
	v_cvt_f32_i32_e32 v93, v93                                 // 000000004514: 7EBA0B5D
	v_cvt_f32_i32_e32 v94, v94                                 // 000000004518: 7EBC0B5E
	v_cvt_f32_i32_e32 v95, v95                                 // 00000000451C: 7EBE0B5F
	v_mul_f32_dpp v92, v24, v92 row_newbcast:0 row_mask:0xf bank_mask:0xf// 000000004520: 0AB8B8FA FF015018
	v_mul_f32_dpp v93, v24, v93 row_newbcast:1 row_mask:0xf bank_mask:0xf// 000000004528: 0ABABAFA FF015118
	v_mul_f32_dpp v94, v24, v94 row_newbcast:2 row_mask:0xf bank_mask:0xf// 000000004530: 0ABCBCFA FF015218
	v_mul_f32_dpp v95, v24, v95 row_newbcast:3 row_mask:0xf bank_mask:0xf// 000000004538: 0ABEBEFA FF015318
	v_cvt_f32_i32_e32 v96, v96                                 // 000000004540: 7EC00B60
	v_cvt_f32_i32_e32 v97, v97                                 // 000000004544: 7EC20B61
	v_cvt_f32_i32_e32 v98, v98                                 // 000000004548: 7EC40B62
	v_cvt_f32_i32_e32 v99, v99                                 // 00000000454C: 7EC60B63
	v_mul_f32_dpp v96, v24, v96 row_newbcast:0 row_mask:0xf bank_mask:0xf// 000000004550: 0AC0C0FA FF015018
	v_mul_f32_dpp v97, v24, v97 row_newbcast:1 row_mask:0xf bank_mask:0xf// 000000004558: 0AC2C2FA FF015118
	v_mul_f32_dpp v98, v24, v98 row_newbcast:2 row_mask:0xf bank_mask:0xf// 000000004560: 0AC4C4FA FF015218
	v_mul_f32_dpp v99, v24, v99 row_newbcast:3 row_mask:0xf bank_mask:0xf// 000000004568: 0AC6C6FA FF015318
	v_cvt_f32_i32_e32 v100, v100                               // 000000004570: 7EC80B64
	v_cvt_f32_i32_e32 v101, v101                               // 000000004574: 7ECA0B65
	v_cvt_f32_i32_e32 v102, v102                               // 000000004578: 7ECC0B66
	v_cvt_f32_i32_e32 v103, v103                               // 00000000457C: 7ECE0B67
	v_mul_f32_dpp v100, v24, v100 row_newbcast:0 row_mask:0xf bank_mask:0xf// 000000004580: 0AC8C8FA FF015018
	v_mul_f32_dpp v101, v24, v101 row_newbcast:1 row_mask:0xf bank_mask:0xf// 000000004588: 0ACACAFA FF015118
	v_mul_f32_dpp v102, v24, v102 row_newbcast:2 row_mask:0xf bank_mask:0xf// 000000004590: 0ACCCCFA FF015218
	v_mul_f32_dpp v103, v24, v103 row_newbcast:3 row_mask:0xf bank_mask:0xf// 000000004598: 0ACECEFA FF015318
	v_cvt_f32_i32_e32 v104, v104                               // 0000000045A0: 7ED00B68
	v_cvt_f32_i32_e32 v105, v105                               // 0000000045A4: 7ED20B69
	v_cvt_f32_i32_e32 v106, v106                               // 0000000045A8: 7ED40B6A
	v_cvt_f32_i32_e32 v107, v107                               // 0000000045AC: 7ED60B6B
	v_mul_f32_dpp v104, v24, v104 row_newbcast:0 row_mask:0xf bank_mask:0xf// 0000000045B0: 0AD0D0FA FF015018
	v_mul_f32_dpp v105, v24, v105 row_newbcast:1 row_mask:0xf bank_mask:0xf// 0000000045B8: 0AD2D2FA FF015118
	v_mul_f32_dpp v106, v24, v106 row_newbcast:2 row_mask:0xf bank_mask:0xf// 0000000045C0: 0AD4D4FA FF015218
	v_mul_f32_dpp v107, v24, v107 row_newbcast:3 row_mask:0xf bank_mask:0xf// 0000000045C8: 0AD6D6FA FF015318
	v_cvt_f32_i32_e32 v108, v108                               // 0000000045D0: 7ED80B6C
	v_cvt_f32_i32_e32 v109, v109                               // 0000000045D4: 7EDA0B6D
	v_cvt_f32_i32_e32 v110, v110                               // 0000000045D8: 7EDC0B6E
	v_cvt_f32_i32_e32 v111, v111                               // 0000000045DC: 7EDE0B6F
	v_mul_f32_dpp v108, v24, v108 row_newbcast:0 row_mask:0xf bank_mask:0xf// 0000000045E0: 0AD8D8FA FF015018
	v_mul_f32_dpp v109, v24, v109 row_newbcast:1 row_mask:0xf bank_mask:0xf// 0000000045E8: 0ADADAFA FF015118
	v_mul_f32_dpp v110, v24, v110 row_newbcast:2 row_mask:0xf bank_mask:0xf// 0000000045F0: 0ADCDCFA FF015218
	v_mul_f32_dpp v111, v24, v111 row_newbcast:3 row_mask:0xf bank_mask:0xf// 0000000045F8: 0ADEDEFA FF015318
	v_cvt_f32_i32_e32 v112, v112                               // 000000004600: 7EE00B70
	v_cvt_f32_i32_e32 v113, v113                               // 000000004604: 7EE20B71
	v_cvt_f32_i32_e32 v114, v114                               // 000000004608: 7EE40B72
	v_cvt_f32_i32_e32 v115, v115                               // 00000000460C: 7EE60B73
	v_mul_f32_dpp v112, v24, v112 row_newbcast:4 row_mask:0xf bank_mask:0xf// 000000004610: 0AE0E0FA FF015418
	v_mul_f32_dpp v113, v24, v113 row_newbcast:5 row_mask:0xf bank_mask:0xf// 000000004618: 0AE2E2FA FF015518
	v_mul_f32_dpp v114, v24, v114 row_newbcast:6 row_mask:0xf bank_mask:0xf// 000000004620: 0AE4E4FA FF015618
	v_mul_f32_dpp v115, v24, v115 row_newbcast:7 row_mask:0xf bank_mask:0xf// 000000004628: 0AE6E6FA FF015718
	v_cvt_f32_i32_e32 v116, v116                               // 000000004630: 7EE80B74
	v_cvt_f32_i32_e32 v117, v117                               // 000000004634: 7EEA0B75
	v_cvt_f32_i32_e32 v118, v118                               // 000000004638: 7EEC0B76
	v_cvt_f32_i32_e32 v119, v119                               // 00000000463C: 7EEE0B77
	v_mul_f32_dpp v116, v24, v116 row_newbcast:4 row_mask:0xf bank_mask:0xf// 000000004640: 0AE8E8FA FF015418
	v_mul_f32_dpp v117, v24, v117 row_newbcast:5 row_mask:0xf bank_mask:0xf// 000000004648: 0AEAEAFA FF015518
	v_mul_f32_dpp v118, v24, v118 row_newbcast:6 row_mask:0xf bank_mask:0xf// 000000004650: 0AECECFA FF015618
	v_mul_f32_dpp v119, v24, v119 row_newbcast:7 row_mask:0xf bank_mask:0xf// 000000004658: 0AEEEEFA FF015718
	v_cvt_f32_i32_e32 v120, v120                               // 000000004660: 7EF00B78
	v_cvt_f32_i32_e32 v121, v121                               // 000000004664: 7EF20B79
	v_cvt_f32_i32_e32 v122, v122                               // 000000004668: 7EF40B7A
	v_cvt_f32_i32_e32 v123, v123                               // 00000000466C: 7EF60B7B
	v_mul_f32_dpp v120, v24, v120 row_newbcast:4 row_mask:0xf bank_mask:0xf// 000000004670: 0AF0F0FA FF015418
	v_mul_f32_dpp v121, v24, v121 row_newbcast:5 row_mask:0xf bank_mask:0xf// 000000004678: 0AF2F2FA FF015518
	v_mul_f32_dpp v122, v24, v122 row_newbcast:6 row_mask:0xf bank_mask:0xf// 000000004680: 0AF4F4FA FF015618
	v_mul_f32_dpp v123, v24, v123 row_newbcast:7 row_mask:0xf bank_mask:0xf// 000000004688: 0AF6F6FA FF015718
	v_cvt_f32_i32_e32 v124, v124                               // 000000004690: 7EF80B7C
	v_cvt_f32_i32_e32 v125, v125                               // 000000004694: 7EFA0B7D
	v_cvt_f32_i32_e32 v126, v126                               // 000000004698: 7EFC0B7E
	v_cvt_f32_i32_e32 v127, v127                               // 00000000469C: 7EFE0B7F
	v_mul_f32_dpp v124, v24, v124 row_newbcast:4 row_mask:0xf bank_mask:0xf// 0000000046A0: 0AF8F8FA FF015418
	v_mul_f32_dpp v125, v24, v125 row_newbcast:5 row_mask:0xf bank_mask:0xf// 0000000046A8: 0AFAFAFA FF015518
	v_mul_f32_dpp v126, v24, v126 row_newbcast:6 row_mask:0xf bank_mask:0xf// 0000000046B0: 0AFCFCFA FF015618
	v_mul_f32_dpp v127, v24, v127 row_newbcast:7 row_mask:0xf bank_mask:0xf// 0000000046B8: 0AFEFEFA FF015718
	v_cvt_f32_i32_e32 v128, v128                               // 0000000046C0: 7F000B80
	v_cvt_f32_i32_e32 v129, v129                               // 0000000046C4: 7F020B81
	v_cvt_f32_i32_e32 v130, v130                               // 0000000046C8: 7F040B82
	v_cvt_f32_i32_e32 v131, v131                               // 0000000046CC: 7F060B83
	v_mul_f32_dpp v128, v24, v128 row_newbcast:4 row_mask:0xf bank_mask:0xf// 0000000046D0: 0B0100FA FF015418
	v_mul_f32_dpp v129, v24, v129 row_newbcast:5 row_mask:0xf bank_mask:0xf// 0000000046D8: 0B0302FA FF015518
	v_mul_f32_dpp v130, v24, v130 row_newbcast:6 row_mask:0xf bank_mask:0xf// 0000000046E0: 0B0504FA FF015618
	v_mul_f32_dpp v131, v24, v131 row_newbcast:7 row_mask:0xf bank_mask:0xf// 0000000046E8: 0B0706FA FF015718
	v_cvt_f32_i32_e32 v132, v132                               // 0000000046F0: 7F080B84
	v_cvt_f32_i32_e32 v133, v133                               // 0000000046F4: 7F0A0B85
	v_cvt_f32_i32_e32 v134, v134                               // 0000000046F8: 7F0C0B86
	v_cvt_f32_i32_e32 v135, v135                               // 0000000046FC: 7F0E0B87
	v_mul_f32_dpp v132, v24, v132 row_newbcast:4 row_mask:0xf bank_mask:0xf// 000000004700: 0B0908FA FF015418
	v_mul_f32_dpp v133, v24, v133 row_newbcast:5 row_mask:0xf bank_mask:0xf// 000000004708: 0B0B0AFA FF015518
	v_mul_f32_dpp v134, v24, v134 row_newbcast:6 row_mask:0xf bank_mask:0xf// 000000004710: 0B0D0CFA FF015618
	v_mul_f32_dpp v135, v24, v135 row_newbcast:7 row_mask:0xf bank_mask:0xf// 000000004718: 0B0F0EFA FF015718
	v_cvt_f32_i32_e32 v136, v136                               // 000000004720: 7F100B88
	v_cvt_f32_i32_e32 v137, v137                               // 000000004724: 7F120B89
	v_cvt_f32_i32_e32 v138, v138                               // 000000004728: 7F140B8A
	v_cvt_f32_i32_e32 v139, v139                               // 00000000472C: 7F160B8B
	v_mul_f32_dpp v136, v24, v136 row_newbcast:4 row_mask:0xf bank_mask:0xf// 000000004730: 0B1110FA FF015418
	v_mul_f32_dpp v137, v24, v137 row_newbcast:5 row_mask:0xf bank_mask:0xf// 000000004738: 0B1312FA FF015518
	v_mul_f32_dpp v138, v24, v138 row_newbcast:6 row_mask:0xf bank_mask:0xf// 000000004740: 0B1514FA FF015618
	v_mul_f32_dpp v139, v24, v139 row_newbcast:7 row_mask:0xf bank_mask:0xf// 000000004748: 0B1716FA FF015718
	v_cvt_f32_i32_e32 v140, v140                               // 000000004750: 7F180B8C
	v_cvt_f32_i32_e32 v141, v141                               // 000000004754: 7F1A0B8D
	v_cvt_f32_i32_e32 v142, v142                               // 000000004758: 7F1C0B8E
	v_cvt_f32_i32_e32 v143, v143                               // 00000000475C: 7F1E0B8F
	v_mul_f32_dpp v140, v24, v140 row_newbcast:4 row_mask:0xf bank_mask:0xf// 000000004760: 0B1918FA FF015418
	v_mul_f32_dpp v141, v24, v141 row_newbcast:5 row_mask:0xf bank_mask:0xf// 000000004768: 0B1B1AFA FF015518
	v_mul_f32_dpp v142, v24, v142 row_newbcast:6 row_mask:0xf bank_mask:0xf// 000000004770: 0B1D1CFA FF015618
	v_mul_f32_dpp v143, v24, v143 row_newbcast:7 row_mask:0xf bank_mask:0xf// 000000004778: 0B1F1EFA FF015718
	v_cvt_f32_i32_e32 v144, v144                               // 000000004780: 7F200B90
	v_cvt_f32_i32_e32 v145, v145                               // 000000004784: 7F220B91
	v_cvt_f32_i32_e32 v146, v146                               // 000000004788: 7F240B92
	v_cvt_f32_i32_e32 v147, v147                               // 00000000478C: 7F260B93
	v_mul_f32_dpp v144, v26, v144 row_newbcast:0 row_mask:0xf bank_mask:0xf// 000000004790: 0B2120FA FF01501A
	v_mul_f32_dpp v145, v26, v145 row_newbcast:1 row_mask:0xf bank_mask:0xf// 000000004798: 0B2322FA FF01511A
	v_mul_f32_dpp v146, v26, v146 row_newbcast:2 row_mask:0xf bank_mask:0xf// 0000000047A0: 0B2524FA FF01521A
	v_mul_f32_dpp v147, v26, v147 row_newbcast:3 row_mask:0xf bank_mask:0xf// 0000000047A8: 0B2726FA FF01531A
	v_cvt_f32_i32_e32 v148, v148                               // 0000000047B0: 7F280B94
	v_cvt_f32_i32_e32 v149, v149                               // 0000000047B4: 7F2A0B95
	v_cvt_f32_i32_e32 v150, v150                               // 0000000047B8: 7F2C0B96
	v_cvt_f32_i32_e32 v151, v151                               // 0000000047BC: 7F2E0B97
	v_mul_f32_dpp v148, v26, v148 row_newbcast:0 row_mask:0xf bank_mask:0xf// 0000000047C0: 0B2928FA FF01501A
	v_mul_f32_dpp v149, v26, v149 row_newbcast:1 row_mask:0xf bank_mask:0xf// 0000000047C8: 0B2B2AFA FF01511A
	v_mul_f32_dpp v150, v26, v150 row_newbcast:2 row_mask:0xf bank_mask:0xf// 0000000047D0: 0B2D2CFA FF01521A
	v_mul_f32_dpp v151, v26, v151 row_newbcast:3 row_mask:0xf bank_mask:0xf// 0000000047D8: 0B2F2EFA FF01531A
	v_cvt_f32_i32_e32 v152, v152                               // 0000000047E0: 7F300B98
	v_cvt_f32_i32_e32 v153, v153                               // 0000000047E4: 7F320B99
	v_cvt_f32_i32_e32 v154, v154                               // 0000000047E8: 7F340B9A
	v_cvt_f32_i32_e32 v155, v155                               // 0000000047EC: 7F360B9B
	v_mul_f32_dpp v152, v26, v152 row_newbcast:0 row_mask:0xf bank_mask:0xf// 0000000047F0: 0B3130FA FF01501A
	v_mul_f32_dpp v153, v26, v153 row_newbcast:1 row_mask:0xf bank_mask:0xf// 0000000047F8: 0B3332FA FF01511A
	v_mul_f32_dpp v154, v26, v154 row_newbcast:2 row_mask:0xf bank_mask:0xf// 000000004800: 0B3534FA FF01521A
	v_mul_f32_dpp v155, v26, v155 row_newbcast:3 row_mask:0xf bank_mask:0xf// 000000004808: 0B3736FA FF01531A
	v_cvt_f32_i32_e32 v156, v156                               // 000000004810: 7F380B9C
	v_cvt_f32_i32_e32 v157, v157                               // 000000004814: 7F3A0B9D
	v_cvt_f32_i32_e32 v158, v158                               // 000000004818: 7F3C0B9E
	v_cvt_f32_i32_e32 v159, v159                               // 00000000481C: 7F3E0B9F
	v_mul_f32_dpp v156, v26, v156 row_newbcast:0 row_mask:0xf bank_mask:0xf// 000000004820: 0B3938FA FF01501A
	v_mul_f32_dpp v157, v26, v157 row_newbcast:1 row_mask:0xf bank_mask:0xf// 000000004828: 0B3B3AFA FF01511A
	v_mul_f32_dpp v158, v26, v158 row_newbcast:2 row_mask:0xf bank_mask:0xf// 000000004830: 0B3D3CFA FF01521A
	v_mul_f32_dpp v159, v26, v159 row_newbcast:3 row_mask:0xf bank_mask:0xf// 000000004838: 0B3F3EFA FF01531A
	v_cvt_f32_i32_e32 v160, v160                               // 000000004840: 7F400BA0
	v_cvt_f32_i32_e32 v161, v161                               // 000000004844: 7F420BA1
	v_cvt_f32_i32_e32 v162, v162                               // 000000004848: 7F440BA2
	v_cvt_f32_i32_e32 v163, v163                               // 00000000484C: 7F460BA3
	v_mul_f32_dpp v160, v26, v160 row_newbcast:0 row_mask:0xf bank_mask:0xf// 000000004850: 0B4140FA FF01501A
	v_mul_f32_dpp v161, v26, v161 row_newbcast:1 row_mask:0xf bank_mask:0xf// 000000004858: 0B4342FA FF01511A
	v_mul_f32_dpp v162, v26, v162 row_newbcast:2 row_mask:0xf bank_mask:0xf// 000000004860: 0B4544FA FF01521A
	v_mul_f32_dpp v163, v26, v163 row_newbcast:3 row_mask:0xf bank_mask:0xf// 000000004868: 0B4746FA FF01531A
	v_cvt_f32_i32_e32 v164, v164                               // 000000004870: 7F480BA4
	v_cvt_f32_i32_e32 v165, v165                               // 000000004874: 7F4A0BA5
	v_cvt_f32_i32_e32 v166, v166                               // 000000004878: 7F4C0BA6
	v_cvt_f32_i32_e32 v167, v167                               // 00000000487C: 7F4E0BA7
	v_mul_f32_dpp v164, v26, v164 row_newbcast:0 row_mask:0xf bank_mask:0xf// 000000004880: 0B4948FA FF01501A
	v_mul_f32_dpp v165, v26, v165 row_newbcast:1 row_mask:0xf bank_mask:0xf// 000000004888: 0B4B4AFA FF01511A
	v_mul_f32_dpp v166, v26, v166 row_newbcast:2 row_mask:0xf bank_mask:0xf// 000000004890: 0B4D4CFA FF01521A
	v_mul_f32_dpp v167, v26, v167 row_newbcast:3 row_mask:0xf bank_mask:0xf// 000000004898: 0B4F4EFA FF01531A
	v_cvt_f32_i32_e32 v168, v168                               // 0000000048A0: 7F500BA8
	v_cvt_f32_i32_e32 v169, v169                               // 0000000048A4: 7F520BA9
	v_cvt_f32_i32_e32 v170, v170                               // 0000000048A8: 7F540BAA
	v_cvt_f32_i32_e32 v171, v171                               // 0000000048AC: 7F560BAB
	v_mul_f32_dpp v168, v26, v168 row_newbcast:0 row_mask:0xf bank_mask:0xf// 0000000048B0: 0B5150FA FF01501A
	v_mul_f32_dpp v169, v26, v169 row_newbcast:1 row_mask:0xf bank_mask:0xf// 0000000048B8: 0B5352FA FF01511A
	v_mul_f32_dpp v170, v26, v170 row_newbcast:2 row_mask:0xf bank_mask:0xf// 0000000048C0: 0B5554FA FF01521A
	v_mul_f32_dpp v171, v26, v171 row_newbcast:3 row_mask:0xf bank_mask:0xf// 0000000048C8: 0B5756FA FF01531A
	v_cvt_f32_i32_e32 v172, v172                               // 0000000048D0: 7F580BAC
	v_cvt_f32_i32_e32 v173, v173                               // 0000000048D4: 7F5A0BAD
	v_cvt_f32_i32_e32 v174, v174                               // 0000000048D8: 7F5C0BAE
	v_cvt_f32_i32_e32 v175, v175                               // 0000000048DC: 7F5E0BAF
	v_mul_f32_dpp v172, v26, v172 row_newbcast:0 row_mask:0xf bank_mask:0xf// 0000000048E0: 0B5958FA FF01501A
	v_mul_f32_dpp v173, v26, v173 row_newbcast:1 row_mask:0xf bank_mask:0xf// 0000000048E8: 0B5B5AFA FF01511A
	v_mul_f32_dpp v174, v26, v174 row_newbcast:2 row_mask:0xf bank_mask:0xf// 0000000048F0: 0B5D5CFA FF01521A
	v_mul_f32_dpp v175, v26, v175 row_newbcast:3 row_mask:0xf bank_mask:0xf// 0000000048F8: 0B5F5EFA FF01531A
	v_cvt_f32_i32_e32 v176, v176                               // 000000004900: 7F600BB0
	v_cvt_f32_i32_e32 v177, v177                               // 000000004904: 7F620BB1
	v_cvt_f32_i32_e32 v178, v178                               // 000000004908: 7F640BB2
	v_cvt_f32_i32_e32 v179, v179                               // 00000000490C: 7F660BB3
	v_mul_f32_dpp v176, v26, v176 row_newbcast:4 row_mask:0xf bank_mask:0xf// 000000004910: 0B6160FA FF01541A
	v_mul_f32_dpp v177, v26, v177 row_newbcast:5 row_mask:0xf bank_mask:0xf// 000000004918: 0B6362FA FF01551A
	v_mul_f32_dpp v178, v26, v178 row_newbcast:6 row_mask:0xf bank_mask:0xf// 000000004920: 0B6564FA FF01561A
	v_mul_f32_dpp v179, v26, v179 row_newbcast:7 row_mask:0xf bank_mask:0xf// 000000004928: 0B6766FA FF01571A
	v_cvt_f32_i32_e32 v180, v180                               // 000000004930: 7F680BB4
	v_cvt_f32_i32_e32 v181, v181                               // 000000004934: 7F6A0BB5
	v_cvt_f32_i32_e32 v182, v182                               // 000000004938: 7F6C0BB6
	v_cvt_f32_i32_e32 v183, v183                               // 00000000493C: 7F6E0BB7
	v_mul_f32_dpp v180, v26, v180 row_newbcast:4 row_mask:0xf bank_mask:0xf// 000000004940: 0B6968FA FF01541A
	v_mul_f32_dpp v181, v26, v181 row_newbcast:5 row_mask:0xf bank_mask:0xf// 000000004948: 0B6B6AFA FF01551A
	v_mul_f32_dpp v182, v26, v182 row_newbcast:6 row_mask:0xf bank_mask:0xf// 000000004950: 0B6D6CFA FF01561A
	v_mul_f32_dpp v183, v26, v183 row_newbcast:7 row_mask:0xf bank_mask:0xf// 000000004958: 0B6F6EFA FF01571A
	v_cvt_f32_i32_e32 v184, v184                               // 000000004960: 7F700BB8
	v_cvt_f32_i32_e32 v185, v185                               // 000000004964: 7F720BB9
	v_cvt_f32_i32_e32 v186, v186                               // 000000004968: 7F740BBA
	v_cvt_f32_i32_e32 v187, v187                               // 00000000496C: 7F760BBB
	v_mul_f32_dpp v184, v26, v184 row_newbcast:4 row_mask:0xf bank_mask:0xf// 000000004970: 0B7170FA FF01541A
	v_mul_f32_dpp v185, v26, v185 row_newbcast:5 row_mask:0xf bank_mask:0xf// 000000004978: 0B7372FA FF01551A
	v_mul_f32_dpp v186, v26, v186 row_newbcast:6 row_mask:0xf bank_mask:0xf// 000000004980: 0B7574FA FF01561A
	v_mul_f32_dpp v187, v26, v187 row_newbcast:7 row_mask:0xf bank_mask:0xf// 000000004988: 0B7776FA FF01571A
	v_cvt_f32_i32_e32 v188, v188                               // 000000004990: 7F780BBC
	v_cvt_f32_i32_e32 v189, v189                               // 000000004994: 7F7A0BBD
	v_cvt_f32_i32_e32 v190, v190                               // 000000004998: 7F7C0BBE
	v_cvt_f32_i32_e32 v191, v191                               // 00000000499C: 7F7E0BBF
	v_mul_f32_dpp v188, v26, v188 row_newbcast:4 row_mask:0xf bank_mask:0xf// 0000000049A0: 0B7978FA FF01541A
	v_mul_f32_dpp v189, v26, v189 row_newbcast:5 row_mask:0xf bank_mask:0xf// 0000000049A8: 0B7B7AFA FF01551A
	v_mul_f32_dpp v190, v26, v190 row_newbcast:6 row_mask:0xf bank_mask:0xf// 0000000049B0: 0B7D7CFA FF01561A
	v_mul_f32_dpp v191, v26, v191 row_newbcast:7 row_mask:0xf bank_mask:0xf// 0000000049B8: 0B7F7EFA FF01571A
	v_cvt_f32_i32_e32 v192, v192                               // 0000000049C0: 7F800BC0
	v_cvt_f32_i32_e32 v193, v193                               // 0000000049C4: 7F820BC1
	v_cvt_f32_i32_e32 v194, v194                               // 0000000049C8: 7F840BC2
	v_cvt_f32_i32_e32 v195, v195                               // 0000000049CC: 7F860BC3
	v_mul_f32_dpp v192, v26, v192 row_newbcast:4 row_mask:0xf bank_mask:0xf// 0000000049D0: 0B8180FA FF01541A
	v_mul_f32_dpp v193, v26, v193 row_newbcast:5 row_mask:0xf bank_mask:0xf// 0000000049D8: 0B8382FA FF01551A
	v_mul_f32_dpp v194, v26, v194 row_newbcast:6 row_mask:0xf bank_mask:0xf// 0000000049E0: 0B8584FA FF01561A
	v_mul_f32_dpp v195, v26, v195 row_newbcast:7 row_mask:0xf bank_mask:0xf// 0000000049E8: 0B8786FA FF01571A
	v_cvt_f32_i32_e32 v196, v196                               // 0000000049F0: 7F880BC4
	v_cvt_f32_i32_e32 v197, v197                               // 0000000049F4: 7F8A0BC5
	v_cvt_f32_i32_e32 v198, v198                               // 0000000049F8: 7F8C0BC6
	v_cvt_f32_i32_e32 v199, v199                               // 0000000049FC: 7F8E0BC7
	v_mul_f32_dpp v196, v26, v196 row_newbcast:4 row_mask:0xf bank_mask:0xf// 000000004A00: 0B8988FA FF01541A
	v_mul_f32_dpp v197, v26, v197 row_newbcast:5 row_mask:0xf bank_mask:0xf// 000000004A08: 0B8B8AFA FF01551A
	v_mul_f32_dpp v198, v26, v198 row_newbcast:6 row_mask:0xf bank_mask:0xf// 000000004A10: 0B8D8CFA FF01561A
	v_mul_f32_dpp v199, v26, v199 row_newbcast:7 row_mask:0xf bank_mask:0xf// 000000004A18: 0B8F8EFA FF01571A
	v_cvt_f32_i32_e32 v200, v200                               // 000000004A20: 7F900BC8
	v_cvt_f32_i32_e32 v201, v201                               // 000000004A24: 7F920BC9
	v_cvt_f32_i32_e32 v202, v202                               // 000000004A28: 7F940BCA
	v_cvt_f32_i32_e32 v203, v203                               // 000000004A2C: 7F960BCB
	v_mul_f32_dpp v200, v26, v200 row_newbcast:4 row_mask:0xf bank_mask:0xf// 000000004A30: 0B9190FA FF01541A
	v_mul_f32_dpp v201, v26, v201 row_newbcast:5 row_mask:0xf bank_mask:0xf// 000000004A38: 0B9392FA FF01551A
	v_mul_f32_dpp v202, v26, v202 row_newbcast:6 row_mask:0xf bank_mask:0xf// 000000004A40: 0B9594FA FF01561A
	v_mul_f32_dpp v203, v26, v203 row_newbcast:7 row_mask:0xf bank_mask:0xf// 000000004A48: 0B9796FA FF01571A
	v_cvt_f32_i32_e32 v204, v204                               // 000000004A50: 7F980BCC
	v_cvt_f32_i32_e32 v205, v205                               // 000000004A54: 7F9A0BCD
	v_cvt_f32_i32_e32 v206, v206                               // 000000004A58: 7F9C0BCE
	v_cvt_f32_i32_e32 v207, v207                               // 000000004A5C: 7F9E0BCF
	v_mul_f32_dpp v204, v26, v204 row_newbcast:4 row_mask:0xf bank_mask:0xf// 000000004A60: 0B9998FA FF01541A
	v_mul_f32_dpp v205, v26, v205 row_newbcast:5 row_mask:0xf bank_mask:0xf// 000000004A68: 0B9B9AFA FF01551A
	v_mul_f32_dpp v206, v26, v206 row_newbcast:6 row_mask:0xf bank_mask:0xf// 000000004A70: 0B9D9CFA FF01561A
	v_mul_f32_dpp v207, v26, v207 row_newbcast:7 row_mask:0xf bank_mask:0xf// 000000004A78: 0B9F9EFA FF01571A
	v_mov_b32_e32 v4, v36                                      // 000000004A80: 7E080324
	v_mov_b32_e32 v5, v4                                       // 000000004A84: 7E0A0304
	v_pk_mul_f32 v[80:81], v[4:5], v[80:81]                    // 000000004A88: D3B14050 1802A104
	v_pk_mul_f32 v[144:145], v[4:5], v[144:145]                // 000000004A90: D3B14090 18032104
	v_pk_mul_f32 v[82:83], v[4:5], v[82:83]                    // 000000004A98: D3B14052 1802A504
	v_pk_mul_f32 v[146:147], v[4:5], v[146:147]                // 000000004AA0: D3B14092 18032504
	v_pk_mul_f32 v[112:113], v[4:5], v[112:113]                // 000000004AA8: D3B14070 1802E104
	v_pk_mul_f32 v[176:177], v[4:5], v[176:177]                // 000000004AB0: D3B140B0 18036104
	v_pk_mul_f32 v[114:115], v[4:5], v[114:115]                // 000000004AB8: D3B14072 1802E504
	v_pk_mul_f32 v[178:179], v[4:5], v[178:179]                // 000000004AC0: D3B140B2 18036504
	v_mov_b32_e32 v4, v37                                      // 000000004AC8: 7E080325
	v_mov_b32_e32 v5, v4                                       // 000000004ACC: 7E0A0304
	v_pk_mul_f32 v[84:85], v[4:5], v[84:85]                    // 000000004AD0: D3B14054 1802A904
	v_pk_mul_f32 v[148:149], v[4:5], v[148:149]                // 000000004AD8: D3B14094 18032904
	v_pk_mul_f32 v[86:87], v[4:5], v[86:87]                    // 000000004AE0: D3B14056 1802AD04
	v_pk_mul_f32 v[150:151], v[4:5], v[150:151]                // 000000004AE8: D3B14096 18032D04
	v_pk_mul_f32 v[116:117], v[4:5], v[116:117]                // 000000004AF0: D3B14074 1802E904
	v_pk_mul_f32 v[180:181], v[4:5], v[180:181]                // 000000004AF8: D3B140B4 18036904
	v_pk_mul_f32 v[118:119], v[4:5], v[118:119]                // 000000004B00: D3B14076 1802ED04
	v_pk_mul_f32 v[182:183], v[4:5], v[182:183]                // 000000004B08: D3B140B6 18036D04
	v_mov_b32_e32 v4, v38                                      // 000000004B10: 7E080326
	v_mov_b32_e32 v5, v4                                       // 000000004B14: 7E0A0304
	v_pk_mul_f32 v[88:89], v[4:5], v[88:89]                    // 000000004B18: D3B14058 1802B104
	v_pk_mul_f32 v[152:153], v[4:5], v[152:153]                // 000000004B20: D3B14098 18033104
	v_pk_mul_f32 v[90:91], v[4:5], v[90:91]                    // 000000004B28: D3B1405A 1802B504
	v_pk_mul_f32 v[154:155], v[4:5], v[154:155]                // 000000004B30: D3B1409A 18033504
	v_pk_mul_f32 v[120:121], v[4:5], v[120:121]                // 000000004B38: D3B14078 1802F104
	v_pk_mul_f32 v[184:185], v[4:5], v[184:185]                // 000000004B40: D3B140B8 18037104
	v_pk_mul_f32 v[122:123], v[4:5], v[122:123]                // 000000004B48: D3B1407A 1802F504
	v_pk_mul_f32 v[186:187], v[4:5], v[186:187]                // 000000004B50: D3B140BA 18037504
	v_mov_b32_e32 v4, v39                                      // 000000004B58: 7E080327
	v_mov_b32_e32 v5, v4                                       // 000000004B5C: 7E0A0304
	v_pk_mul_f32 v[92:93], v[4:5], v[92:93]                    // 000000004B60: D3B1405C 1802B904
	v_pk_mul_f32 v[156:157], v[4:5], v[156:157]                // 000000004B68: D3B1409C 18033904
	v_pk_mul_f32 v[94:95], v[4:5], v[94:95]                    // 000000004B70: D3B1405E 1802BD04
	v_pk_mul_f32 v[158:159], v[4:5], v[158:159]                // 000000004B78: D3B1409E 18033D04
	v_pk_mul_f32 v[124:125], v[4:5], v[124:125]                // 000000004B80: D3B1407C 1802F904
	v_pk_mul_f32 v[188:189], v[4:5], v[188:189]                // 000000004B88: D3B140BC 18037904
	v_pk_mul_f32 v[126:127], v[4:5], v[126:127]                // 000000004B90: D3B1407E 1802FD04
	v_pk_mul_f32 v[190:191], v[4:5], v[190:191]                // 000000004B98: D3B140BE 18037D04
	v_mov_b32_e32 v4, v40                                      // 000000004BA0: 7E080328
	v_mov_b32_e32 v5, v4                                       // 000000004BA4: 7E0A0304
	v_pk_mul_f32 v[96:97], v[4:5], v[96:97]                    // 000000004BA8: D3B14060 1802C104
	v_pk_mul_f32 v[160:161], v[4:5], v[160:161]                // 000000004BB0: D3B140A0 18034104
	v_pk_mul_f32 v[98:99], v[4:5], v[98:99]                    // 000000004BB8: D3B14062 1802C504
	v_pk_mul_f32 v[162:163], v[4:5], v[162:163]                // 000000004BC0: D3B140A2 18034504
	v_pk_mul_f32 v[128:129], v[4:5], v[128:129]                // 000000004BC8: D3B14080 18030104
	v_pk_mul_f32 v[192:193], v[4:5], v[192:193]                // 000000004BD0: D3B140C0 18038104
	v_pk_mul_f32 v[130:131], v[4:5], v[130:131]                // 000000004BD8: D3B14082 18030504
	v_pk_mul_f32 v[194:195], v[4:5], v[194:195]                // 000000004BE0: D3B140C2 18038504
	v_mov_b32_e32 v4, v41                                      // 000000004BE8: 7E080329
	v_mov_b32_e32 v5, v4                                       // 000000004BEC: 7E0A0304
	v_pk_mul_f32 v[100:101], v[4:5], v[100:101]                // 000000004BF0: D3B14064 1802C904
	v_pk_mul_f32 v[164:165], v[4:5], v[164:165]                // 000000004BF8: D3B140A4 18034904
	v_pk_mul_f32 v[102:103], v[4:5], v[102:103]                // 000000004C00: D3B14066 1802CD04
	v_pk_mul_f32 v[166:167], v[4:5], v[166:167]                // 000000004C08: D3B140A6 18034D04
	v_pk_mul_f32 v[132:133], v[4:5], v[132:133]                // 000000004C10: D3B14084 18030904
	v_pk_mul_f32 v[196:197], v[4:5], v[196:197]                // 000000004C18: D3B140C4 18038904
	v_pk_mul_f32 v[134:135], v[4:5], v[134:135]                // 000000004C20: D3B14086 18030D04
	v_pk_mul_f32 v[198:199], v[4:5], v[198:199]                // 000000004C28: D3B140C6 18038D04
	v_mov_b32_e32 v4, v42                                      // 000000004C30: 7E08032A
	v_mov_b32_e32 v5, v4                                       // 000000004C34: 7E0A0304
	v_pk_mul_f32 v[104:105], v[4:5], v[104:105]                // 000000004C38: D3B14068 1802D104
	v_pk_mul_f32 v[168:169], v[4:5], v[168:169]                // 000000004C40: D3B140A8 18035104
	v_pk_mul_f32 v[106:107], v[4:5], v[106:107]                // 000000004C48: D3B1406A 1802D504
	v_pk_mul_f32 v[170:171], v[4:5], v[170:171]                // 000000004C50: D3B140AA 18035504
	v_pk_mul_f32 v[136:137], v[4:5], v[136:137]                // 000000004C58: D3B14088 18031104
	v_pk_mul_f32 v[200:201], v[4:5], v[200:201]                // 000000004C60: D3B140C8 18039104
	v_pk_mul_f32 v[138:139], v[4:5], v[138:139]                // 000000004C68: D3B1408A 18031504
	v_pk_mul_f32 v[202:203], v[4:5], v[202:203]                // 000000004C70: D3B140CA 18039504
	v_mov_b32_e32 v4, v43                                      // 000000004C78: 7E08032B
	v_mov_b32_e32 v5, v4                                       // 000000004C7C: 7E0A0304
	v_pk_mul_f32 v[108:109], v[4:5], v[108:109]                // 000000004C80: D3B1406C 1802D904
	v_pk_mul_f32 v[172:173], v[4:5], v[172:173]                // 000000004C88: D3B140AC 18035904
	v_pk_mul_f32 v[110:111], v[4:5], v[110:111]                // 000000004C90: D3B1406E 1802DD04
	v_pk_mul_f32 v[174:175], v[4:5], v[174:175]                // 000000004C98: D3B140AE 18035D04
	v_pk_mul_f32 v[140:141], v[4:5], v[140:141]                // 000000004CA0: D3B1408C 18031904
	v_pk_mul_f32 v[204:205], v[4:5], v[204:205]                // 000000004CA8: D3B140CC 18039904
	v_pk_mul_f32 v[142:143], v[4:5], v[142:143]                // 000000004CB0: D3B1408E 18031D04
	v_pk_mul_f32 v[206:207], v[4:5], v[206:207]                // 000000004CB8: D3B140CE 18039D04
	s_cmp_eq_u32 s88, 0                                        // 000000004CC0: BF068058
	s_cbranch_scc0 label_1213                                  // 000000004CC4: BF840961
	s_cmp_eq_u32 s89, 0                                        // 000000004CC8: BF068059
	s_cbranch_scc1 label_0B39                                  // 000000004CCC: BF850285
	v_mov_b32_e32 v8, v1                                       // 000000004CD0: 7E100301
	v_mov_b32_e32 v9, v1                                       // 000000004CD4: 7E120301
	s_mov_b32 s60, s6                                          // 000000004CD8: BEBC0006
	s_mov_b32 s61, s6                                          // 000000004CDC: BEBD0006
	v_pk_mul_f32 v[4:5], v[80:81], v[80:81]                    // 000000004CE0: D3B14004 1802A150
	v_pk_mul_f32 v[6:7], v[82:83], v[82:83]                    // 000000004CE8: D3B14006 1802A552
	v_pk_fma_f32 v[4:5], v[4:5], s[78:79], v[8:9]              // 000000004CF0: D3B04004 1C209D04
	v_pk_fma_f32 v[6:7], v[6:7], s[78:79], v[8:9]              // 000000004CF8: D3B04006 1C209D06
	v_pk_mul_f32 v[4:5], v[4:5], v[80:81]                      // 000000004D00: D3B14004 1802A104
	v_pk_mul_f32 v[6:7], v[6:7], v[82:83]                      // 000000004D08: D3B14006 1802A506
	v_pk_mul_f32 v[4:5], v[4:5], s[60:61]                      // 000000004D10: D3B14004 18007904
	v_pk_mul_f32 v[6:7], v[6:7], s[60:61]                      // 000000004D18: D3B14006 18007906
	v_exp_f32_e32 v4, v4                                       // 000000004D20: 7E084104
	v_exp_f32_e32 v5, v5                                       // 000000004D24: 7E0A4105
	v_exp_f32_e32 v6, v6                                       // 000000004D28: 7E0C4106
	v_exp_f32_e32 v7, v7                                       // 000000004D2C: 7E0E4107
	v_add_f32_e64 v4, v4, 1.0                                  // 000000004D30: D1010004 0001E504
	v_add_f32_e64 v5, v5, 1.0                                  // 000000004D38: D1010005 0001E505
	v_add_f32_e64 v6, v6, 1.0                                  // 000000004D40: D1010006 0001E506
	v_add_f32_e64 v7, v7, 1.0                                  // 000000004D48: D1010007 0001E507
	v_rcp_f32_e32 v4, v4                                       // 000000004D50: 7E084504
	v_rcp_f32_e32 v5, v5                                       // 000000004D54: 7E0A4505
	v_rcp_f32_e32 v6, v6                                       // 000000004D58: 7E0C4506
	v_rcp_f32_e32 v7, v7                                       // 000000004D5C: 7E0E4507
	v_mul_f32_e32 v80, v80, v4                                 // 000000004D60: 0AA00950
	v_mul_f32_e32 v81, v81, v5                                 // 000000004D64: 0AA20B51
	v_mul_f32_e32 v82, v82, v6                                 // 000000004D68: 0AA40D52
	v_mul_f32_e32 v83, v83, v7                                 // 000000004D6C: 0AA60F53
	v_mul_f32_e32 v80, v80, v144                               // 000000004D70: 0AA12150
	v_mul_f32_e32 v81, v81, v145                               // 000000004D74: 0AA32351
	v_mul_f32_e32 v82, v82, v146                               // 000000004D78: 0AA52552
	v_mul_f32_e32 v83, v83, v147                               // 000000004D7C: 0AA72753
	v_pk_mul_f32 v[4:5], v[84:85], v[84:85]                    // 000000004D80: D3B14004 1802A954
	v_pk_mul_f32 v[6:7], v[86:87], v[86:87]                    // 000000004D88: D3B14006 1802AD56
	v_pk_fma_f32 v[4:5], v[4:5], s[78:79], v[8:9]              // 000000004D90: D3B04004 1C209D04
	v_pk_fma_f32 v[6:7], v[6:7], s[78:79], v[8:9]              // 000000004D98: D3B04006 1C209D06
	v_pk_mul_f32 v[4:5], v[4:5], v[84:85]                      // 000000004DA0: D3B14004 1802A904
	v_pk_mul_f32 v[6:7], v[6:7], v[86:87]                      // 000000004DA8: D3B14006 1802AD06
	v_pk_mul_f32 v[4:5], v[4:5], s[60:61]                      // 000000004DB0: D3B14004 18007904
	v_pk_mul_f32 v[6:7], v[6:7], s[60:61]                      // 000000004DB8: D3B14006 18007906
	v_exp_f32_e32 v4, v4                                       // 000000004DC0: 7E084104
	v_exp_f32_e32 v5, v5                                       // 000000004DC4: 7E0A4105
	v_exp_f32_e32 v6, v6                                       // 000000004DC8: 7E0C4106
	v_exp_f32_e32 v7, v7                                       // 000000004DCC: 7E0E4107
	v_add_f32_e64 v4, v4, 1.0                                  // 000000004DD0: D1010004 0001E504
	v_add_f32_e64 v5, v5, 1.0                                  // 000000004DD8: D1010005 0001E505
	v_add_f32_e64 v6, v6, 1.0                                  // 000000004DE0: D1010006 0001E506
	v_add_f32_e64 v7, v7, 1.0                                  // 000000004DE8: D1010007 0001E507
	v_rcp_f32_e32 v4, v4                                       // 000000004DF0: 7E084504
	v_rcp_f32_e32 v5, v5                                       // 000000004DF4: 7E0A4505
	v_rcp_f32_e32 v6, v6                                       // 000000004DF8: 7E0C4506
	v_rcp_f32_e32 v7, v7                                       // 000000004DFC: 7E0E4507
	v_mul_f32_e32 v84, v84, v4                                 // 000000004E00: 0AA80954
	v_mul_f32_e32 v85, v85, v5                                 // 000000004E04: 0AAA0B55
	v_mul_f32_e32 v86, v86, v6                                 // 000000004E08: 0AAC0D56
	v_mul_f32_e32 v87, v87, v7                                 // 000000004E0C: 0AAE0F57
	v_mul_f32_e32 v84, v84, v148                               // 000000004E10: 0AA92954
	v_mul_f32_e32 v85, v85, v149                               // 000000004E14: 0AAB2B55
	v_mul_f32_e32 v86, v86, v150                               // 000000004E18: 0AAD2D56
	v_mul_f32_e32 v87, v87, v151                               // 000000004E1C: 0AAF2F57
	v_pk_mul_f32 v[4:5], v[88:89], v[88:89]                    // 000000004E20: D3B14004 1802B158
	v_pk_mul_f32 v[6:7], v[90:91], v[90:91]                    // 000000004E28: D3B14006 1802B55A
	v_pk_fma_f32 v[4:5], v[4:5], s[78:79], v[8:9]              // 000000004E30: D3B04004 1C209D04
	v_pk_fma_f32 v[6:7], v[6:7], s[78:79], v[8:9]              // 000000004E38: D3B04006 1C209D06
	v_pk_mul_f32 v[4:5], v[4:5], v[88:89]                      // 000000004E40: D3B14004 1802B104
	v_pk_mul_f32 v[6:7], v[6:7], v[90:91]                      // 000000004E48: D3B14006 1802B506
	v_pk_mul_f32 v[4:5], v[4:5], s[60:61]                      // 000000004E50: D3B14004 18007904
	v_pk_mul_f32 v[6:7], v[6:7], s[60:61]                      // 000000004E58: D3B14006 18007906
	v_exp_f32_e32 v4, v4                                       // 000000004E60: 7E084104
	v_exp_f32_e32 v5, v5                                       // 000000004E64: 7E0A4105
	v_exp_f32_e32 v6, v6                                       // 000000004E68: 7E0C4106
	v_exp_f32_e32 v7, v7                                       // 000000004E6C: 7E0E4107
	v_add_f32_e64 v4, v4, 1.0                                  // 000000004E70: D1010004 0001E504
	v_add_f32_e64 v5, v5, 1.0                                  // 000000004E78: D1010005 0001E505
	v_add_f32_e64 v6, v6, 1.0                                  // 000000004E80: D1010006 0001E506
	v_add_f32_e64 v7, v7, 1.0                                  // 000000004E88: D1010007 0001E507
	v_rcp_f32_e32 v4, v4                                       // 000000004E90: 7E084504
	v_rcp_f32_e32 v5, v5                                       // 000000004E94: 7E0A4505
	v_rcp_f32_e32 v6, v6                                       // 000000004E98: 7E0C4506
	v_rcp_f32_e32 v7, v7                                       // 000000004E9C: 7E0E4507
	v_mul_f32_e32 v88, v88, v4                                 // 000000004EA0: 0AB00958
	v_mul_f32_e32 v89, v89, v5                                 // 000000004EA4: 0AB20B59
	v_mul_f32_e32 v90, v90, v6                                 // 000000004EA8: 0AB40D5A
	v_mul_f32_e32 v91, v91, v7                                 // 000000004EAC: 0AB60F5B
	v_mul_f32_e32 v88, v88, v152                               // 000000004EB0: 0AB13158
	v_mul_f32_e32 v89, v89, v153                               // 000000004EB4: 0AB33359
	v_mul_f32_e32 v90, v90, v154                               // 000000004EB8: 0AB5355A
	v_mul_f32_e32 v91, v91, v155                               // 000000004EBC: 0AB7375B
	v_pk_mul_f32 v[4:5], v[92:93], v[92:93]                    // 000000004EC0: D3B14004 1802B95C
	v_pk_mul_f32 v[6:7], v[94:95], v[94:95]                    // 000000004EC8: D3B14006 1802BD5E
	v_pk_fma_f32 v[4:5], v[4:5], s[78:79], v[8:9]              // 000000004ED0: D3B04004 1C209D04
	v_pk_fma_f32 v[6:7], v[6:7], s[78:79], v[8:9]              // 000000004ED8: D3B04006 1C209D06
	v_pk_mul_f32 v[4:5], v[4:5], v[92:93]                      // 000000004EE0: D3B14004 1802B904
	v_pk_mul_f32 v[6:7], v[6:7], v[94:95]                      // 000000004EE8: D3B14006 1802BD06
	v_pk_mul_f32 v[4:5], v[4:5], s[60:61]                      // 000000004EF0: D3B14004 18007904
	v_pk_mul_f32 v[6:7], v[6:7], s[60:61]                      // 000000004EF8: D3B14006 18007906
	v_exp_f32_e32 v4, v4                                       // 000000004F00: 7E084104
	v_exp_f32_e32 v5, v5                                       // 000000004F04: 7E0A4105
	v_exp_f32_e32 v6, v6                                       // 000000004F08: 7E0C4106
	v_exp_f32_e32 v7, v7                                       // 000000004F0C: 7E0E4107
	v_add_f32_e64 v4, v4, 1.0                                  // 000000004F10: D1010004 0001E504
	v_add_f32_e64 v5, v5, 1.0                                  // 000000004F18: D1010005 0001E505
	v_add_f32_e64 v6, v6, 1.0                                  // 000000004F20: D1010006 0001E506
	v_add_f32_e64 v7, v7, 1.0                                  // 000000004F28: D1010007 0001E507
	v_rcp_f32_e32 v4, v4                                       // 000000004F30: 7E084504
	v_rcp_f32_e32 v5, v5                                       // 000000004F34: 7E0A4505
	v_rcp_f32_e32 v6, v6                                       // 000000004F38: 7E0C4506
	v_rcp_f32_e32 v7, v7                                       // 000000004F3C: 7E0E4507
	v_mul_f32_e32 v92, v92, v4                                 // 000000004F40: 0AB8095C
	v_mul_f32_e32 v93, v93, v5                                 // 000000004F44: 0ABA0B5D
	v_mul_f32_e32 v94, v94, v6                                 // 000000004F48: 0ABC0D5E
	v_mul_f32_e32 v95, v95, v7                                 // 000000004F4C: 0ABE0F5F
	v_mul_f32_e32 v92, v92, v156                               // 000000004F50: 0AB9395C
	v_mul_f32_e32 v93, v93, v157                               // 000000004F54: 0ABB3B5D
	v_mul_f32_e32 v94, v94, v158                               // 000000004F58: 0ABD3D5E
	v_mul_f32_e32 v95, v95, v159                               // 000000004F5C: 0ABF3F5F
	v_pk_mul_f32 v[4:5], v[96:97], v[96:97]                    // 000000004F60: D3B14004 1802C160
	v_pk_mul_f32 v[6:7], v[98:99], v[98:99]                    // 000000004F68: D3B14006 1802C562
	v_pk_fma_f32 v[4:5], v[4:5], s[78:79], v[8:9]              // 000000004F70: D3B04004 1C209D04
	v_pk_fma_f32 v[6:7], v[6:7], s[78:79], v[8:9]              // 000000004F78: D3B04006 1C209D06
	v_pk_mul_f32 v[4:5], v[4:5], v[96:97]                      // 000000004F80: D3B14004 1802C104
	v_pk_mul_f32 v[6:7], v[6:7], v[98:99]                      // 000000004F88: D3B14006 1802C506
	v_pk_mul_f32 v[4:5], v[4:5], s[60:61]                      // 000000004F90: D3B14004 18007904
	v_pk_mul_f32 v[6:7], v[6:7], s[60:61]                      // 000000004F98: D3B14006 18007906
	v_exp_f32_e32 v4, v4                                       // 000000004FA0: 7E084104
	v_exp_f32_e32 v5, v5                                       // 000000004FA4: 7E0A4105
	v_exp_f32_e32 v6, v6                                       // 000000004FA8: 7E0C4106
	v_exp_f32_e32 v7, v7                                       // 000000004FAC: 7E0E4107
	v_add_f32_e64 v4, v4, 1.0                                  // 000000004FB0: D1010004 0001E504
	v_add_f32_e64 v5, v5, 1.0                                  // 000000004FB8: D1010005 0001E505
	v_add_f32_e64 v6, v6, 1.0                                  // 000000004FC0: D1010006 0001E506
	v_add_f32_e64 v7, v7, 1.0                                  // 000000004FC8: D1010007 0001E507
	v_rcp_f32_e32 v4, v4                                       // 000000004FD0: 7E084504
	v_rcp_f32_e32 v5, v5                                       // 000000004FD4: 7E0A4505
	v_rcp_f32_e32 v6, v6                                       // 000000004FD8: 7E0C4506
	v_rcp_f32_e32 v7, v7                                       // 000000004FDC: 7E0E4507
	v_mul_f32_e32 v96, v96, v4                                 // 000000004FE0: 0AC00960
	v_mul_f32_e32 v97, v97, v5                                 // 000000004FE4: 0AC20B61
	v_mul_f32_e32 v98, v98, v6                                 // 000000004FE8: 0AC40D62
	v_mul_f32_e32 v99, v99, v7                                 // 000000004FEC: 0AC60F63
	v_mul_f32_e32 v96, v96, v160                               // 000000004FF0: 0AC14160
	v_mul_f32_e32 v97, v97, v161                               // 000000004FF4: 0AC34361
	v_mul_f32_e32 v98, v98, v162                               // 000000004FF8: 0AC54562
	v_mul_f32_e32 v99, v99, v163                               // 000000004FFC: 0AC74763
	v_pk_mul_f32 v[4:5], v[100:101], v[100:101]                // 000000005000: D3B14004 1802C964
	v_pk_mul_f32 v[6:7], v[102:103], v[102:103]                // 000000005008: D3B14006 1802CD66
	v_pk_fma_f32 v[4:5], v[4:5], s[78:79], v[8:9]              // 000000005010: D3B04004 1C209D04
	v_pk_fma_f32 v[6:7], v[6:7], s[78:79], v[8:9]              // 000000005018: D3B04006 1C209D06
	v_pk_mul_f32 v[4:5], v[4:5], v[100:101]                    // 000000005020: D3B14004 1802C904
	v_pk_mul_f32 v[6:7], v[6:7], v[102:103]                    // 000000005028: D3B14006 1802CD06
	v_pk_mul_f32 v[4:5], v[4:5], s[60:61]                      // 000000005030: D3B14004 18007904
	v_pk_mul_f32 v[6:7], v[6:7], s[60:61]                      // 000000005038: D3B14006 18007906
	v_exp_f32_e32 v4, v4                                       // 000000005040: 7E084104
	v_exp_f32_e32 v5, v5                                       // 000000005044: 7E0A4105
	v_exp_f32_e32 v6, v6                                       // 000000005048: 7E0C4106
	v_exp_f32_e32 v7, v7                                       // 00000000504C: 7E0E4107
	v_add_f32_e64 v4, v4, 1.0                                  // 000000005050: D1010004 0001E504
	v_add_f32_e64 v5, v5, 1.0                                  // 000000005058: D1010005 0001E505
	v_add_f32_e64 v6, v6, 1.0                                  // 000000005060: D1010006 0001E506
	v_add_f32_e64 v7, v7, 1.0                                  // 000000005068: D1010007 0001E507
	v_rcp_f32_e32 v4, v4                                       // 000000005070: 7E084504
	v_rcp_f32_e32 v5, v5                                       // 000000005074: 7E0A4505
	v_rcp_f32_e32 v6, v6                                       // 000000005078: 7E0C4506
	v_rcp_f32_e32 v7, v7                                       // 00000000507C: 7E0E4507
	v_mul_f32_e32 v100, v100, v4                               // 000000005080: 0AC80964
	v_mul_f32_e32 v101, v101, v5                               // 000000005084: 0ACA0B65
	v_mul_f32_e32 v102, v102, v6                               // 000000005088: 0ACC0D66
	v_mul_f32_e32 v103, v103, v7                               // 00000000508C: 0ACE0F67
	v_mul_f32_e32 v100, v100, v164                             // 000000005090: 0AC94964
	v_mul_f32_e32 v101, v101, v165                             // 000000005094: 0ACB4B65
	v_mul_f32_e32 v102, v102, v166                             // 000000005098: 0ACD4D66
	v_mul_f32_e32 v103, v103, v167                             // 00000000509C: 0ACF4F67
	v_pk_mul_f32 v[4:5], v[104:105], v[104:105]                // 0000000050A0: D3B14004 1802D168
	v_pk_mul_f32 v[6:7], v[106:107], v[106:107]                // 0000000050A8: D3B14006 1802D56A
	v_pk_fma_f32 v[4:5], v[4:5], s[78:79], v[8:9]              // 0000000050B0: D3B04004 1C209D04
	v_pk_fma_f32 v[6:7], v[6:7], s[78:79], v[8:9]              // 0000000050B8: D3B04006 1C209D06
	v_pk_mul_f32 v[4:5], v[4:5], v[104:105]                    // 0000000050C0: D3B14004 1802D104
	v_pk_mul_f32 v[6:7], v[6:7], v[106:107]                    // 0000000050C8: D3B14006 1802D506
	v_pk_mul_f32 v[4:5], v[4:5], s[60:61]                      // 0000000050D0: D3B14004 18007904
	v_pk_mul_f32 v[6:7], v[6:7], s[60:61]                      // 0000000050D8: D3B14006 18007906
	v_exp_f32_e32 v4, v4                                       // 0000000050E0: 7E084104
	v_exp_f32_e32 v5, v5                                       // 0000000050E4: 7E0A4105
	v_exp_f32_e32 v6, v6                                       // 0000000050E8: 7E0C4106
	v_exp_f32_e32 v7, v7                                       // 0000000050EC: 7E0E4107
	v_add_f32_e64 v4, v4, 1.0                                  // 0000000050F0: D1010004 0001E504
	v_add_f32_e64 v5, v5, 1.0                                  // 0000000050F8: D1010005 0001E505
	v_add_f32_e64 v6, v6, 1.0                                  // 000000005100: D1010006 0001E506
	v_add_f32_e64 v7, v7, 1.0                                  // 000000005108: D1010007 0001E507
	v_rcp_f32_e32 v4, v4                                       // 000000005110: 7E084504
	v_rcp_f32_e32 v5, v5                                       // 000000005114: 7E0A4505
	v_rcp_f32_e32 v6, v6                                       // 000000005118: 7E0C4506
	v_rcp_f32_e32 v7, v7                                       // 00000000511C: 7E0E4507
	v_mul_f32_e32 v104, v104, v4                               // 000000005120: 0AD00968
	v_mul_f32_e32 v105, v105, v5                               // 000000005124: 0AD20B69
	v_mul_f32_e32 v106, v106, v6                               // 000000005128: 0AD40D6A
	v_mul_f32_e32 v107, v107, v7                               // 00000000512C: 0AD60F6B
	v_mul_f32_e32 v104, v104, v168                             // 000000005130: 0AD15168
	v_mul_f32_e32 v105, v105, v169                             // 000000005134: 0AD35369
	v_mul_f32_e32 v106, v106, v170                             // 000000005138: 0AD5556A
	v_mul_f32_e32 v107, v107, v171                             // 00000000513C: 0AD7576B
	v_pk_mul_f32 v[4:5], v[108:109], v[108:109]                // 000000005140: D3B14004 1802D96C
	v_pk_mul_f32 v[6:7], v[110:111], v[110:111]                // 000000005148: D3B14006 1802DD6E
	v_pk_fma_f32 v[4:5], v[4:5], s[78:79], v[8:9]              // 000000005150: D3B04004 1C209D04
	v_pk_fma_f32 v[6:7], v[6:7], s[78:79], v[8:9]              // 000000005158: D3B04006 1C209D06
	v_pk_mul_f32 v[4:5], v[4:5], v[108:109]                    // 000000005160: D3B14004 1802D904
	v_pk_mul_f32 v[6:7], v[6:7], v[110:111]                    // 000000005168: D3B14006 1802DD06
	v_pk_mul_f32 v[4:5], v[4:5], s[60:61]                      // 000000005170: D3B14004 18007904
	v_pk_mul_f32 v[6:7], v[6:7], s[60:61]                      // 000000005178: D3B14006 18007906
	v_exp_f32_e32 v4, v4                                       // 000000005180: 7E084104
	v_exp_f32_e32 v5, v5                                       // 000000005184: 7E0A4105
	v_exp_f32_e32 v6, v6                                       // 000000005188: 7E0C4106
	v_exp_f32_e32 v7, v7                                       // 00000000518C: 7E0E4107
	v_add_f32_e64 v4, v4, 1.0                                  // 000000005190: D1010004 0001E504
	v_add_f32_e64 v5, v5, 1.0                                  // 000000005198: D1010005 0001E505
	v_add_f32_e64 v6, v6, 1.0                                  // 0000000051A0: D1010006 0001E506
	v_add_f32_e64 v7, v7, 1.0                                  // 0000000051A8: D1010007 0001E507
	v_rcp_f32_e32 v4, v4                                       // 0000000051B0: 7E084504
	v_rcp_f32_e32 v5, v5                                       // 0000000051B4: 7E0A4505
	v_rcp_f32_e32 v6, v6                                       // 0000000051B8: 7E0C4506
	v_rcp_f32_e32 v7, v7                                       // 0000000051BC: 7E0E4507
	v_mul_f32_e32 v108, v108, v4                               // 0000000051C0: 0AD8096C
	v_mul_f32_e32 v109, v109, v5                               // 0000000051C4: 0ADA0B6D
	v_mul_f32_e32 v110, v110, v6                               // 0000000051C8: 0ADC0D6E
	v_mul_f32_e32 v111, v111, v7                               // 0000000051CC: 0ADE0F6F
	v_mul_f32_e32 v108, v108, v172                             // 0000000051D0: 0AD9596C
	v_mul_f32_e32 v109, v109, v173                             // 0000000051D4: 0ADB5B6D
	v_mul_f32_e32 v110, v110, v174                             // 0000000051D8: 0ADD5D6E
	v_mul_f32_e32 v111, v111, v175                             // 0000000051DC: 0ADF5F6F
	v_pk_mul_f32 v[4:5], v[112:113], v[112:113]                // 0000000051E0: D3B14004 1802E170
	v_pk_mul_f32 v[6:7], v[114:115], v[114:115]                // 0000000051E8: D3B14006 1802E572
	v_pk_fma_f32 v[4:5], v[4:5], s[78:79], v[8:9]              // 0000000051F0: D3B04004 1C209D04
	v_pk_fma_f32 v[6:7], v[6:7], s[78:79], v[8:9]              // 0000000051F8: D3B04006 1C209D06
	v_pk_mul_f32 v[4:5], v[4:5], v[112:113]                    // 000000005200: D3B14004 1802E104
	v_pk_mul_f32 v[6:7], v[6:7], v[114:115]                    // 000000005208: D3B14006 1802E506
	v_pk_mul_f32 v[4:5], v[4:5], s[60:61]                      // 000000005210: D3B14004 18007904
	v_pk_mul_f32 v[6:7], v[6:7], s[60:61]                      // 000000005218: D3B14006 18007906
	v_exp_f32_e32 v4, v4                                       // 000000005220: 7E084104
	v_exp_f32_e32 v5, v5                                       // 000000005224: 7E0A4105
	v_exp_f32_e32 v6, v6                                       // 000000005228: 7E0C4106
	v_exp_f32_e32 v7, v7                                       // 00000000522C: 7E0E4107
	v_add_f32_e64 v4, v4, 1.0                                  // 000000005230: D1010004 0001E504
	v_add_f32_e64 v5, v5, 1.0                                  // 000000005238: D1010005 0001E505
	v_add_f32_e64 v6, v6, 1.0                                  // 000000005240: D1010006 0001E506
	v_add_f32_e64 v7, v7, 1.0                                  // 000000005248: D1010007 0001E507
	v_rcp_f32_e32 v4, v4                                       // 000000005250: 7E084504
	v_rcp_f32_e32 v5, v5                                       // 000000005254: 7E0A4505
	v_rcp_f32_e32 v6, v6                                       // 000000005258: 7E0C4506
	v_rcp_f32_e32 v7, v7                                       // 00000000525C: 7E0E4507
	v_mul_f32_e32 v112, v112, v4                               // 000000005260: 0AE00970
	v_mul_f32_e32 v113, v113, v5                               // 000000005264: 0AE20B71
	v_mul_f32_e32 v114, v114, v6                               // 000000005268: 0AE40D72
	v_mul_f32_e32 v115, v115, v7                               // 00000000526C: 0AE60F73
	v_mul_f32_e32 v112, v112, v176                             // 000000005270: 0AE16170
	v_mul_f32_e32 v113, v113, v177                             // 000000005274: 0AE36371
	v_mul_f32_e32 v114, v114, v178                             // 000000005278: 0AE56572
	v_mul_f32_e32 v115, v115, v179                             // 00000000527C: 0AE76773
	v_pk_mul_f32 v[4:5], v[116:117], v[116:117]                // 000000005280: D3B14004 1802E974
	v_pk_mul_f32 v[6:7], v[118:119], v[118:119]                // 000000005288: D3B14006 1802ED76
	v_pk_fma_f32 v[4:5], v[4:5], s[78:79], v[8:9]              // 000000005290: D3B04004 1C209D04
	v_pk_fma_f32 v[6:7], v[6:7], s[78:79], v[8:9]              // 000000005298: D3B04006 1C209D06
	v_pk_mul_f32 v[4:5], v[4:5], v[116:117]                    // 0000000052A0: D3B14004 1802E904
	v_pk_mul_f32 v[6:7], v[6:7], v[118:119]                    // 0000000052A8: D3B14006 1802ED06
	v_pk_mul_f32 v[4:5], v[4:5], s[60:61]                      // 0000000052B0: D3B14004 18007904
	v_pk_mul_f32 v[6:7], v[6:7], s[60:61]                      // 0000000052B8: D3B14006 18007906
	v_exp_f32_e32 v4, v4                                       // 0000000052C0: 7E084104
	v_exp_f32_e32 v5, v5                                       // 0000000052C4: 7E0A4105
	v_exp_f32_e32 v6, v6                                       // 0000000052C8: 7E0C4106
	v_exp_f32_e32 v7, v7                                       // 0000000052CC: 7E0E4107
	v_add_f32_e64 v4, v4, 1.0                                  // 0000000052D0: D1010004 0001E504
	v_add_f32_e64 v5, v5, 1.0                                  // 0000000052D8: D1010005 0001E505
	v_add_f32_e64 v6, v6, 1.0                                  // 0000000052E0: D1010006 0001E506
	v_add_f32_e64 v7, v7, 1.0                                  // 0000000052E8: D1010007 0001E507
	v_rcp_f32_e32 v4, v4                                       // 0000000052F0: 7E084504
	v_rcp_f32_e32 v5, v5                                       // 0000000052F4: 7E0A4505
	v_rcp_f32_e32 v6, v6                                       // 0000000052F8: 7E0C4506
	v_rcp_f32_e32 v7, v7                                       // 0000000052FC: 7E0E4507
	v_mul_f32_e32 v116, v116, v4                               // 000000005300: 0AE80974
	v_mul_f32_e32 v117, v117, v5                               // 000000005304: 0AEA0B75
	v_mul_f32_e32 v118, v118, v6                               // 000000005308: 0AEC0D76
	v_mul_f32_e32 v119, v119, v7                               // 00000000530C: 0AEE0F77
	v_mul_f32_e32 v116, v116, v180                             // 000000005310: 0AE96974
	v_mul_f32_e32 v117, v117, v181                             // 000000005314: 0AEB6B75
	v_mul_f32_e32 v118, v118, v182                             // 000000005318: 0AED6D76
	v_mul_f32_e32 v119, v119, v183                             // 00000000531C: 0AEF6F77
	v_pk_mul_f32 v[4:5], v[120:121], v[120:121]                // 000000005320: D3B14004 1802F178
	v_pk_mul_f32 v[6:7], v[122:123], v[122:123]                // 000000005328: D3B14006 1802F57A
	v_pk_fma_f32 v[4:5], v[4:5], s[78:79], v[8:9]              // 000000005330: D3B04004 1C209D04
	v_pk_fma_f32 v[6:7], v[6:7], s[78:79], v[8:9]              // 000000005338: D3B04006 1C209D06
	v_pk_mul_f32 v[4:5], v[4:5], v[120:121]                    // 000000005340: D3B14004 1802F104
	v_pk_mul_f32 v[6:7], v[6:7], v[122:123]                    // 000000005348: D3B14006 1802F506
	v_pk_mul_f32 v[4:5], v[4:5], s[60:61]                      // 000000005350: D3B14004 18007904
	v_pk_mul_f32 v[6:7], v[6:7], s[60:61]                      // 000000005358: D3B14006 18007906
	v_exp_f32_e32 v4, v4                                       // 000000005360: 7E084104
	v_exp_f32_e32 v5, v5                                       // 000000005364: 7E0A4105
	v_exp_f32_e32 v6, v6                                       // 000000005368: 7E0C4106
	v_exp_f32_e32 v7, v7                                       // 00000000536C: 7E0E4107
	v_add_f32_e64 v4, v4, 1.0                                  // 000000005370: D1010004 0001E504
	v_add_f32_e64 v5, v5, 1.0                                  // 000000005378: D1010005 0001E505
	v_add_f32_e64 v6, v6, 1.0                                  // 000000005380: D1010006 0001E506
	v_add_f32_e64 v7, v7, 1.0                                  // 000000005388: D1010007 0001E507
	v_rcp_f32_e32 v4, v4                                       // 000000005390: 7E084504
	v_rcp_f32_e32 v5, v5                                       // 000000005394: 7E0A4505
	v_rcp_f32_e32 v6, v6                                       // 000000005398: 7E0C4506
	v_rcp_f32_e32 v7, v7                                       // 00000000539C: 7E0E4507
	v_mul_f32_e32 v120, v120, v4                               // 0000000053A0: 0AF00978
	v_mul_f32_e32 v121, v121, v5                               // 0000000053A4: 0AF20B79
	v_mul_f32_e32 v122, v122, v6                               // 0000000053A8: 0AF40D7A
	v_mul_f32_e32 v123, v123, v7                               // 0000000053AC: 0AF60F7B
	v_mul_f32_e32 v120, v120, v184                             // 0000000053B0: 0AF17178
	v_mul_f32_e32 v121, v121, v185                             // 0000000053B4: 0AF37379
	v_mul_f32_e32 v122, v122, v186                             // 0000000053B8: 0AF5757A
	v_mul_f32_e32 v123, v123, v187                             // 0000000053BC: 0AF7777B
	v_pk_mul_f32 v[4:5], v[124:125], v[124:125]                // 0000000053C0: D3B14004 1802F97C
	v_pk_mul_f32 v[6:7], v[126:127], v[126:127]                // 0000000053C8: D3B14006 1802FD7E
	v_pk_fma_f32 v[4:5], v[4:5], s[78:79], v[8:9]              // 0000000053D0: D3B04004 1C209D04
	v_pk_fma_f32 v[6:7], v[6:7], s[78:79], v[8:9]              // 0000000053D8: D3B04006 1C209D06
	v_pk_mul_f32 v[4:5], v[4:5], v[124:125]                    // 0000000053E0: D3B14004 1802F904
	v_pk_mul_f32 v[6:7], v[6:7], v[126:127]                    // 0000000053E8: D3B14006 1802FD06
	v_pk_mul_f32 v[4:5], v[4:5], s[60:61]                      // 0000000053F0: D3B14004 18007904
	v_pk_mul_f32 v[6:7], v[6:7], s[60:61]                      // 0000000053F8: D3B14006 18007906
	v_exp_f32_e32 v4, v4                                       // 000000005400: 7E084104
	v_exp_f32_e32 v5, v5                                       // 000000005404: 7E0A4105
	v_exp_f32_e32 v6, v6                                       // 000000005408: 7E0C4106
	v_exp_f32_e32 v7, v7                                       // 00000000540C: 7E0E4107
	v_add_f32_e64 v4, v4, 1.0                                  // 000000005410: D1010004 0001E504
	v_add_f32_e64 v5, v5, 1.0                                  // 000000005418: D1010005 0001E505
	v_add_f32_e64 v6, v6, 1.0                                  // 000000005420: D1010006 0001E506
	v_add_f32_e64 v7, v7, 1.0                                  // 000000005428: D1010007 0001E507
	v_rcp_f32_e32 v4, v4                                       // 000000005430: 7E084504
	v_rcp_f32_e32 v5, v5                                       // 000000005434: 7E0A4505
	v_rcp_f32_e32 v6, v6                                       // 000000005438: 7E0C4506
	v_rcp_f32_e32 v7, v7                                       // 00000000543C: 7E0E4507
	v_mul_f32_e32 v124, v124, v4                               // 000000005440: 0AF8097C
	v_mul_f32_e32 v125, v125, v5                               // 000000005444: 0AFA0B7D
	v_mul_f32_e32 v126, v126, v6                               // 000000005448: 0AFC0D7E
	v_mul_f32_e32 v127, v127, v7                               // 00000000544C: 0AFE0F7F
	v_mul_f32_e32 v124, v124, v188                             // 000000005450: 0AF9797C
	v_mul_f32_e32 v125, v125, v189                             // 000000005454: 0AFB7B7D
	v_mul_f32_e32 v126, v126, v190                             // 000000005458: 0AFD7D7E
	v_mul_f32_e32 v127, v127, v191                             // 00000000545C: 0AFF7F7F
	v_pk_mul_f32 v[4:5], v[128:129], v[128:129]                // 000000005460: D3B14004 18030180
	v_pk_mul_f32 v[6:7], v[130:131], v[130:131]                // 000000005468: D3B14006 18030582
	v_pk_fma_f32 v[4:5], v[4:5], s[78:79], v[8:9]              // 000000005470: D3B04004 1C209D04
	v_pk_fma_f32 v[6:7], v[6:7], s[78:79], v[8:9]              // 000000005478: D3B04006 1C209D06
	v_pk_mul_f32 v[4:5], v[4:5], v[128:129]                    // 000000005480: D3B14004 18030104
	v_pk_mul_f32 v[6:7], v[6:7], v[130:131]                    // 000000005488: D3B14006 18030506
	v_pk_mul_f32 v[4:5], v[4:5], s[60:61]                      // 000000005490: D3B14004 18007904
	v_pk_mul_f32 v[6:7], v[6:7], s[60:61]                      // 000000005498: D3B14006 18007906
	v_exp_f32_e32 v4, v4                                       // 0000000054A0: 7E084104
	v_exp_f32_e32 v5, v5                                       // 0000000054A4: 7E0A4105
	v_exp_f32_e32 v6, v6                                       // 0000000054A8: 7E0C4106
	v_exp_f32_e32 v7, v7                                       // 0000000054AC: 7E0E4107
	v_add_f32_e64 v4, v4, 1.0                                  // 0000000054B0: D1010004 0001E504
	v_add_f32_e64 v5, v5, 1.0                                  // 0000000054B8: D1010005 0001E505
	v_add_f32_e64 v6, v6, 1.0                                  // 0000000054C0: D1010006 0001E506
	v_add_f32_e64 v7, v7, 1.0                                  // 0000000054C8: D1010007 0001E507
	v_rcp_f32_e32 v4, v4                                       // 0000000054D0: 7E084504
	v_rcp_f32_e32 v5, v5                                       // 0000000054D4: 7E0A4505
	v_rcp_f32_e32 v6, v6                                       // 0000000054D8: 7E0C4506
	v_rcp_f32_e32 v7, v7                                       // 0000000054DC: 7E0E4507
	v_mul_f32_e32 v128, v128, v4                               // 0000000054E0: 0B000980
	v_mul_f32_e32 v129, v129, v5                               // 0000000054E4: 0B020B81
	v_mul_f32_e32 v130, v130, v6                               // 0000000054E8: 0B040D82
	v_mul_f32_e32 v131, v131, v7                               // 0000000054EC: 0B060F83
	v_mul_f32_e32 v128, v128, v192                             // 0000000054F0: 0B018180
	v_mul_f32_e32 v129, v129, v193                             // 0000000054F4: 0B038381
	v_mul_f32_e32 v130, v130, v194                             // 0000000054F8: 0B058582
	v_mul_f32_e32 v131, v131, v195                             // 0000000054FC: 0B078783
	v_pk_mul_f32 v[4:5], v[132:133], v[132:133]                // 000000005500: D3B14004 18030984
	v_pk_mul_f32 v[6:7], v[134:135], v[134:135]                // 000000005508: D3B14006 18030D86
	v_pk_fma_f32 v[4:5], v[4:5], s[78:79], v[8:9]              // 000000005510: D3B04004 1C209D04
	v_pk_fma_f32 v[6:7], v[6:7], s[78:79], v[8:9]              // 000000005518: D3B04006 1C209D06
	v_pk_mul_f32 v[4:5], v[4:5], v[132:133]                    // 000000005520: D3B14004 18030904
	v_pk_mul_f32 v[6:7], v[6:7], v[134:135]                    // 000000005528: D3B14006 18030D06
	v_pk_mul_f32 v[4:5], v[4:5], s[60:61]                      // 000000005530: D3B14004 18007904
	v_pk_mul_f32 v[6:7], v[6:7], s[60:61]                      // 000000005538: D3B14006 18007906
	v_exp_f32_e32 v4, v4                                       // 000000005540: 7E084104
	v_exp_f32_e32 v5, v5                                       // 000000005544: 7E0A4105
	v_exp_f32_e32 v6, v6                                       // 000000005548: 7E0C4106
	v_exp_f32_e32 v7, v7                                       // 00000000554C: 7E0E4107
	v_add_f32_e64 v4, v4, 1.0                                  // 000000005550: D1010004 0001E504
	v_add_f32_e64 v5, v5, 1.0                                  // 000000005558: D1010005 0001E505
	v_add_f32_e64 v6, v6, 1.0                                  // 000000005560: D1010006 0001E506
	v_add_f32_e64 v7, v7, 1.0                                  // 000000005568: D1010007 0001E507
	v_rcp_f32_e32 v4, v4                                       // 000000005570: 7E084504
	v_rcp_f32_e32 v5, v5                                       // 000000005574: 7E0A4505
	v_rcp_f32_e32 v6, v6                                       // 000000005578: 7E0C4506
	v_rcp_f32_e32 v7, v7                                       // 00000000557C: 7E0E4507
	v_mul_f32_e32 v132, v132, v4                               // 000000005580: 0B080984
	v_mul_f32_e32 v133, v133, v5                               // 000000005584: 0B0A0B85
	v_mul_f32_e32 v134, v134, v6                               // 000000005588: 0B0C0D86
	v_mul_f32_e32 v135, v135, v7                               // 00000000558C: 0B0E0F87
	v_mul_f32_e32 v132, v132, v196                             // 000000005590: 0B098984
	v_mul_f32_e32 v133, v133, v197                             // 000000005594: 0B0B8B85
	v_mul_f32_e32 v134, v134, v198                             // 000000005598: 0B0D8D86
	v_mul_f32_e32 v135, v135, v199                             // 00000000559C: 0B0F8F87
	v_pk_mul_f32 v[4:5], v[136:137], v[136:137]                // 0000000055A0: D3B14004 18031188
	v_pk_mul_f32 v[6:7], v[138:139], v[138:139]                // 0000000055A8: D3B14006 1803158A
	v_pk_fma_f32 v[4:5], v[4:5], s[78:79], v[8:9]              // 0000000055B0: D3B04004 1C209D04
	v_pk_fma_f32 v[6:7], v[6:7], s[78:79], v[8:9]              // 0000000055B8: D3B04006 1C209D06
	v_pk_mul_f32 v[4:5], v[4:5], v[136:137]                    // 0000000055C0: D3B14004 18031104
	v_pk_mul_f32 v[6:7], v[6:7], v[138:139]                    // 0000000055C8: D3B14006 18031506
	v_pk_mul_f32 v[4:5], v[4:5], s[60:61]                      // 0000000055D0: D3B14004 18007904
	v_pk_mul_f32 v[6:7], v[6:7], s[60:61]                      // 0000000055D8: D3B14006 18007906
	v_exp_f32_e32 v4, v4                                       // 0000000055E0: 7E084104
	v_exp_f32_e32 v5, v5                                       // 0000000055E4: 7E0A4105
	v_exp_f32_e32 v6, v6                                       // 0000000055E8: 7E0C4106
	v_exp_f32_e32 v7, v7                                       // 0000000055EC: 7E0E4107
	v_add_f32_e64 v4, v4, 1.0                                  // 0000000055F0: D1010004 0001E504
	v_add_f32_e64 v5, v5, 1.0                                  // 0000000055F8: D1010005 0001E505
	v_add_f32_e64 v6, v6, 1.0                                  // 000000005600: D1010006 0001E506
	v_add_f32_e64 v7, v7, 1.0                                  // 000000005608: D1010007 0001E507
	v_rcp_f32_e32 v4, v4                                       // 000000005610: 7E084504
	v_rcp_f32_e32 v5, v5                                       // 000000005614: 7E0A4505
	v_rcp_f32_e32 v6, v6                                       // 000000005618: 7E0C4506
	v_rcp_f32_e32 v7, v7                                       // 00000000561C: 7E0E4507
	v_mul_f32_e32 v136, v136, v4                               // 000000005620: 0B100988
	v_mul_f32_e32 v137, v137, v5                               // 000000005624: 0B120B89
	v_mul_f32_e32 v138, v138, v6                               // 000000005628: 0B140D8A
	v_mul_f32_e32 v139, v139, v7                               // 00000000562C: 0B160F8B
	v_mul_f32_e32 v136, v136, v200                             // 000000005630: 0B119188
	v_mul_f32_e32 v137, v137, v201                             // 000000005634: 0B139389
	v_mul_f32_e32 v138, v138, v202                             // 000000005638: 0B15958A
	v_mul_f32_e32 v139, v139, v203                             // 00000000563C: 0B17978B
	v_pk_mul_f32 v[4:5], v[140:141], v[140:141]                // 000000005640: D3B14004 1803198C
	v_pk_mul_f32 v[6:7], v[142:143], v[142:143]                // 000000005648: D3B14006 18031D8E
	v_pk_fma_f32 v[4:5], v[4:5], s[78:79], v[8:9]              // 000000005650: D3B04004 1C209D04
	v_pk_fma_f32 v[6:7], v[6:7], s[78:79], v[8:9]              // 000000005658: D3B04006 1C209D06
	v_pk_mul_f32 v[4:5], v[4:5], v[140:141]                    // 000000005660: D3B14004 18031904
	v_pk_mul_f32 v[6:7], v[6:7], v[142:143]                    // 000000005668: D3B14006 18031D06
	v_pk_mul_f32 v[4:5], v[4:5], s[60:61]                      // 000000005670: D3B14004 18007904
	v_pk_mul_f32 v[6:7], v[6:7], s[60:61]                      // 000000005678: D3B14006 18007906
	v_exp_f32_e32 v4, v4                                       // 000000005680: 7E084104
	v_exp_f32_e32 v5, v5                                       // 000000005684: 7E0A4105
	v_exp_f32_e32 v6, v6                                       // 000000005688: 7E0C4106
	v_exp_f32_e32 v7, v7                                       // 00000000568C: 7E0E4107
	v_add_f32_e64 v4, v4, 1.0                                  // 000000005690: D1010004 0001E504
	v_add_f32_e64 v5, v5, 1.0                                  // 000000005698: D1010005 0001E505
	v_add_f32_e64 v6, v6, 1.0                                  // 0000000056A0: D1010006 0001E506
	v_add_f32_e64 v7, v7, 1.0                                  // 0000000056A8: D1010007 0001E507
	v_rcp_f32_e32 v4, v4                                       // 0000000056B0: 7E084504
	v_rcp_f32_e32 v5, v5                                       // 0000000056B4: 7E0A4505
	v_rcp_f32_e32 v6, v6                                       // 0000000056B8: 7E0C4506
	v_rcp_f32_e32 v7, v7                                       // 0000000056BC: 7E0E4507
	v_mul_f32_e32 v140, v140, v4                               // 0000000056C0: 0B18098C
	v_mul_f32_e32 v141, v141, v5                               // 0000000056C4: 0B1A0B8D
	v_mul_f32_e32 v142, v142, v6                               // 0000000056C8: 0B1C0D8E
	v_mul_f32_e32 v143, v143, v7                               // 0000000056CC: 0B1E0F8F
	v_mul_f32_e32 v140, v140, v204                             // 0000000056D0: 0B19998C
	v_mul_f32_e32 v141, v141, v205                             // 0000000056D4: 0B1B9B8D
	v_mul_f32_e32 v142, v142, v206                             // 0000000056D8: 0B1D9D8E
	v_mul_f32_e32 v143, v143, v207                             // 0000000056DC: 0B1F9F8F
	s_branch label_0D39                                        // 0000000056E0: BF820200

00000000000056e4 <label_0B39>:
	v_mul_f32_e64 v4, -v80, s6                                 // 0000000056E4: D1050004 20000D50
	v_mul_f32_e64 v5, -v81, s6                                 // 0000000056EC: D1050005 20000D51
	v_mul_f32_e64 v6, -v82, s6                                 // 0000000056F4: D1050006 20000D52
	v_mul_f32_e64 v7, -v83, s6                                 // 0000000056FC: D1050007 20000D53
	v_exp_f32_e32 v4, v4                                       // 000000005704: 7E084104
	v_exp_f32_e32 v5, v5                                       // 000000005708: 7E0A4105
	v_exp_f32_e32 v6, v6                                       // 00000000570C: 7E0C4106
	v_exp_f32_e32 v7, v7                                       // 000000005710: 7E0E4107
	v_add_f32_e64 v4, v4, 1.0                                  // 000000005714: D1010004 0001E504
	v_add_f32_e64 v5, v5, 1.0                                  // 00000000571C: D1010005 0001E505
	v_add_f32_e64 v6, v6, 1.0                                  // 000000005724: D1010006 0001E506
	v_add_f32_e64 v7, v7, 1.0                                  // 00000000572C: D1010007 0001E507
	v_rcp_f32_e32 v4, v4                                       // 000000005734: 7E084504
	v_rcp_f32_e32 v5, v5                                       // 000000005738: 7E0A4505
	v_rcp_f32_e32 v6, v6                                       // 00000000573C: 7E0C4506
	v_rcp_f32_e32 v7, v7                                       // 000000005740: 7E0E4507
	v_mul_f32_e32 v80, v80, v4                                 // 000000005744: 0AA00950
	v_mul_f32_e32 v81, v81, v5                                 // 000000005748: 0AA20B51
	v_mul_f32_e32 v82, v82, v6                                 // 00000000574C: 0AA40D52
	v_mul_f32_e32 v83, v83, v7                                 // 000000005750: 0AA60F53
	v_mul_f32_e32 v80, v80, v144                               // 000000005754: 0AA12150
	v_mul_f32_e32 v81, v81, v145                               // 000000005758: 0AA32351
	v_mul_f32_e32 v82, v82, v146                               // 00000000575C: 0AA52552
	v_mul_f32_e32 v83, v83, v147                               // 000000005760: 0AA72753
	v_mul_f32_e64 v4, -v84, s6                                 // 000000005764: D1050004 20000D54
	v_mul_f32_e64 v5, -v85, s6                                 // 00000000576C: D1050005 20000D55
	v_mul_f32_e64 v6, -v86, s6                                 // 000000005774: D1050006 20000D56
	v_mul_f32_e64 v7, -v87, s6                                 // 00000000577C: D1050007 20000D57
	v_exp_f32_e32 v4, v4                                       // 000000005784: 7E084104
	v_exp_f32_e32 v5, v5                                       // 000000005788: 7E0A4105
	v_exp_f32_e32 v6, v6                                       // 00000000578C: 7E0C4106
	v_exp_f32_e32 v7, v7                                       // 000000005790: 7E0E4107
	v_add_f32_e64 v4, v4, 1.0                                  // 000000005794: D1010004 0001E504
	v_add_f32_e64 v5, v5, 1.0                                  // 00000000579C: D1010005 0001E505
	v_add_f32_e64 v6, v6, 1.0                                  // 0000000057A4: D1010006 0001E506
	v_add_f32_e64 v7, v7, 1.0                                  // 0000000057AC: D1010007 0001E507
	v_rcp_f32_e32 v4, v4                                       // 0000000057B4: 7E084504
	v_rcp_f32_e32 v5, v5                                       // 0000000057B8: 7E0A4505
	v_rcp_f32_e32 v6, v6                                       // 0000000057BC: 7E0C4506
	v_rcp_f32_e32 v7, v7                                       // 0000000057C0: 7E0E4507
	v_mul_f32_e32 v84, v84, v4                                 // 0000000057C4: 0AA80954
	v_mul_f32_e32 v85, v85, v5                                 // 0000000057C8: 0AAA0B55
	v_mul_f32_e32 v86, v86, v6                                 // 0000000057CC: 0AAC0D56
	v_mul_f32_e32 v87, v87, v7                                 // 0000000057D0: 0AAE0F57
	v_mul_f32_e32 v84, v84, v148                               // 0000000057D4: 0AA92954
	v_mul_f32_e32 v85, v85, v149                               // 0000000057D8: 0AAB2B55
	v_mul_f32_e32 v86, v86, v150                               // 0000000057DC: 0AAD2D56
	v_mul_f32_e32 v87, v87, v151                               // 0000000057E0: 0AAF2F57
	v_mul_f32_e64 v4, -v88, s6                                 // 0000000057E4: D1050004 20000D58
	v_mul_f32_e64 v5, -v89, s6                                 // 0000000057EC: D1050005 20000D59
	v_mul_f32_e64 v6, -v90, s6                                 // 0000000057F4: D1050006 20000D5A
	v_mul_f32_e64 v7, -v91, s6                                 // 0000000057FC: D1050007 20000D5B
	v_exp_f32_e32 v4, v4                                       // 000000005804: 7E084104
	v_exp_f32_e32 v5, v5                                       // 000000005808: 7E0A4105
	v_exp_f32_e32 v6, v6                                       // 00000000580C: 7E0C4106
	v_exp_f32_e32 v7, v7                                       // 000000005810: 7E0E4107
	v_add_f32_e64 v4, v4, 1.0                                  // 000000005814: D1010004 0001E504
	v_add_f32_e64 v5, v5, 1.0                                  // 00000000581C: D1010005 0001E505
	v_add_f32_e64 v6, v6, 1.0                                  // 000000005824: D1010006 0001E506
	v_add_f32_e64 v7, v7, 1.0                                  // 00000000582C: D1010007 0001E507
	v_rcp_f32_e32 v4, v4                                       // 000000005834: 7E084504
	v_rcp_f32_e32 v5, v5                                       // 000000005838: 7E0A4505
	v_rcp_f32_e32 v6, v6                                       // 00000000583C: 7E0C4506
	v_rcp_f32_e32 v7, v7                                       // 000000005840: 7E0E4507
	v_mul_f32_e32 v88, v88, v4                                 // 000000005844: 0AB00958
	v_mul_f32_e32 v89, v89, v5                                 // 000000005848: 0AB20B59
	v_mul_f32_e32 v90, v90, v6                                 // 00000000584C: 0AB40D5A
	v_mul_f32_e32 v91, v91, v7                                 // 000000005850: 0AB60F5B
	v_mul_f32_e32 v88, v88, v152                               // 000000005854: 0AB13158
	v_mul_f32_e32 v89, v89, v153                               // 000000005858: 0AB33359
	v_mul_f32_e32 v90, v90, v154                               // 00000000585C: 0AB5355A
	v_mul_f32_e32 v91, v91, v155                               // 000000005860: 0AB7375B
	v_mul_f32_e64 v4, -v92, s6                                 // 000000005864: D1050004 20000D5C
	v_mul_f32_e64 v5, -v93, s6                                 // 00000000586C: D1050005 20000D5D
	v_mul_f32_e64 v6, -v94, s6                                 // 000000005874: D1050006 20000D5E
	v_mul_f32_e64 v7, -v95, s6                                 // 00000000587C: D1050007 20000D5F
	v_exp_f32_e32 v4, v4                                       // 000000005884: 7E084104
	v_exp_f32_e32 v5, v5                                       // 000000005888: 7E0A4105
	v_exp_f32_e32 v6, v6                                       // 00000000588C: 7E0C4106
	v_exp_f32_e32 v7, v7                                       // 000000005890: 7E0E4107
	v_add_f32_e64 v4, v4, 1.0                                  // 000000005894: D1010004 0001E504
	v_add_f32_e64 v5, v5, 1.0                                  // 00000000589C: D1010005 0001E505
	v_add_f32_e64 v6, v6, 1.0                                  // 0000000058A4: D1010006 0001E506
	v_add_f32_e64 v7, v7, 1.0                                  // 0000000058AC: D1010007 0001E507
	v_rcp_f32_e32 v4, v4                                       // 0000000058B4: 7E084504
	v_rcp_f32_e32 v5, v5                                       // 0000000058B8: 7E0A4505
	v_rcp_f32_e32 v6, v6                                       // 0000000058BC: 7E0C4506
	v_rcp_f32_e32 v7, v7                                       // 0000000058C0: 7E0E4507
	v_mul_f32_e32 v92, v92, v4                                 // 0000000058C4: 0AB8095C
	v_mul_f32_e32 v93, v93, v5                                 // 0000000058C8: 0ABA0B5D
	v_mul_f32_e32 v94, v94, v6                                 // 0000000058CC: 0ABC0D5E
	v_mul_f32_e32 v95, v95, v7                                 // 0000000058D0: 0ABE0F5F
	v_mul_f32_e32 v92, v92, v156                               // 0000000058D4: 0AB9395C
	v_mul_f32_e32 v93, v93, v157                               // 0000000058D8: 0ABB3B5D
	v_mul_f32_e32 v94, v94, v158                               // 0000000058DC: 0ABD3D5E
	v_mul_f32_e32 v95, v95, v159                               // 0000000058E0: 0ABF3F5F
	v_mul_f32_e64 v4, -v96, s6                                 // 0000000058E4: D1050004 20000D60
	v_mul_f32_e64 v5, -v97, s6                                 // 0000000058EC: D1050005 20000D61
	v_mul_f32_e64 v6, -v98, s6                                 // 0000000058F4: D1050006 20000D62
	v_mul_f32_e64 v7, -v99, s6                                 // 0000000058FC: D1050007 20000D63
	v_exp_f32_e32 v4, v4                                       // 000000005904: 7E084104
	v_exp_f32_e32 v5, v5                                       // 000000005908: 7E0A4105
	v_exp_f32_e32 v6, v6                                       // 00000000590C: 7E0C4106
	v_exp_f32_e32 v7, v7                                       // 000000005910: 7E0E4107
	v_add_f32_e64 v4, v4, 1.0                                  // 000000005914: D1010004 0001E504
	v_add_f32_e64 v5, v5, 1.0                                  // 00000000591C: D1010005 0001E505
	v_add_f32_e64 v6, v6, 1.0                                  // 000000005924: D1010006 0001E506
	v_add_f32_e64 v7, v7, 1.0                                  // 00000000592C: D1010007 0001E507
	v_rcp_f32_e32 v4, v4                                       // 000000005934: 7E084504
	v_rcp_f32_e32 v5, v5                                       // 000000005938: 7E0A4505
	v_rcp_f32_e32 v6, v6                                       // 00000000593C: 7E0C4506
	v_rcp_f32_e32 v7, v7                                       // 000000005940: 7E0E4507
	v_mul_f32_e32 v96, v96, v4                                 // 000000005944: 0AC00960
	v_mul_f32_e32 v97, v97, v5                                 // 000000005948: 0AC20B61
	v_mul_f32_e32 v98, v98, v6                                 // 00000000594C: 0AC40D62
	v_mul_f32_e32 v99, v99, v7                                 // 000000005950: 0AC60F63
	v_mul_f32_e32 v96, v96, v160                               // 000000005954: 0AC14160
	v_mul_f32_e32 v97, v97, v161                               // 000000005958: 0AC34361
	v_mul_f32_e32 v98, v98, v162                               // 00000000595C: 0AC54562
	v_mul_f32_e32 v99, v99, v163                               // 000000005960: 0AC74763
	v_mul_f32_e64 v4, -v100, s6                                // 000000005964: D1050004 20000D64
	v_mul_f32_e64 v5, -v101, s6                                // 00000000596C: D1050005 20000D65
	v_mul_f32_e64 v6, -v102, s6                                // 000000005974: D1050006 20000D66
	v_mul_f32_e64 v7, -v103, s6                                // 00000000597C: D1050007 20000D67
	v_exp_f32_e32 v4, v4                                       // 000000005984: 7E084104
	v_exp_f32_e32 v5, v5                                       // 000000005988: 7E0A4105
	v_exp_f32_e32 v6, v6                                       // 00000000598C: 7E0C4106
	v_exp_f32_e32 v7, v7                                       // 000000005990: 7E0E4107
	v_add_f32_e64 v4, v4, 1.0                                  // 000000005994: D1010004 0001E504
	v_add_f32_e64 v5, v5, 1.0                                  // 00000000599C: D1010005 0001E505
	v_add_f32_e64 v6, v6, 1.0                                  // 0000000059A4: D1010006 0001E506
	v_add_f32_e64 v7, v7, 1.0                                  // 0000000059AC: D1010007 0001E507
	v_rcp_f32_e32 v4, v4                                       // 0000000059B4: 7E084504
	v_rcp_f32_e32 v5, v5                                       // 0000000059B8: 7E0A4505
	v_rcp_f32_e32 v6, v6                                       // 0000000059BC: 7E0C4506
	v_rcp_f32_e32 v7, v7                                       // 0000000059C0: 7E0E4507
	v_mul_f32_e32 v100, v100, v4                               // 0000000059C4: 0AC80964
	v_mul_f32_e32 v101, v101, v5                               // 0000000059C8: 0ACA0B65
	v_mul_f32_e32 v102, v102, v6                               // 0000000059CC: 0ACC0D66
	v_mul_f32_e32 v103, v103, v7                               // 0000000059D0: 0ACE0F67
	v_mul_f32_e32 v100, v100, v164                             // 0000000059D4: 0AC94964
	v_mul_f32_e32 v101, v101, v165                             // 0000000059D8: 0ACB4B65
	v_mul_f32_e32 v102, v102, v166                             // 0000000059DC: 0ACD4D66
	v_mul_f32_e32 v103, v103, v167                             // 0000000059E0: 0ACF4F67
	v_mul_f32_e64 v4, -v104, s6                                // 0000000059E4: D1050004 20000D68
	v_mul_f32_e64 v5, -v105, s6                                // 0000000059EC: D1050005 20000D69
	v_mul_f32_e64 v6, -v106, s6                                // 0000000059F4: D1050006 20000D6A
	v_mul_f32_e64 v7, -v107, s6                                // 0000000059FC: D1050007 20000D6B
	v_exp_f32_e32 v4, v4                                       // 000000005A04: 7E084104
	v_exp_f32_e32 v5, v5                                       // 000000005A08: 7E0A4105
	v_exp_f32_e32 v6, v6                                       // 000000005A0C: 7E0C4106
	v_exp_f32_e32 v7, v7                                       // 000000005A10: 7E0E4107
	v_add_f32_e64 v4, v4, 1.0                                  // 000000005A14: D1010004 0001E504
	v_add_f32_e64 v5, v5, 1.0                                  // 000000005A1C: D1010005 0001E505
	v_add_f32_e64 v6, v6, 1.0                                  // 000000005A24: D1010006 0001E506
	v_add_f32_e64 v7, v7, 1.0                                  // 000000005A2C: D1010007 0001E507
	v_rcp_f32_e32 v4, v4                                       // 000000005A34: 7E084504
	v_rcp_f32_e32 v5, v5                                       // 000000005A38: 7E0A4505
	v_rcp_f32_e32 v6, v6                                       // 000000005A3C: 7E0C4506
	v_rcp_f32_e32 v7, v7                                       // 000000005A40: 7E0E4507
	v_mul_f32_e32 v104, v104, v4                               // 000000005A44: 0AD00968
	v_mul_f32_e32 v105, v105, v5                               // 000000005A48: 0AD20B69
	v_mul_f32_e32 v106, v106, v6                               // 000000005A4C: 0AD40D6A
	v_mul_f32_e32 v107, v107, v7                               // 000000005A50: 0AD60F6B
	v_mul_f32_e32 v104, v104, v168                             // 000000005A54: 0AD15168
	v_mul_f32_e32 v105, v105, v169                             // 000000005A58: 0AD35369
	v_mul_f32_e32 v106, v106, v170                             // 000000005A5C: 0AD5556A
	v_mul_f32_e32 v107, v107, v171                             // 000000005A60: 0AD7576B
	v_mul_f32_e64 v4, -v108, s6                                // 000000005A64: D1050004 20000D6C
	v_mul_f32_e64 v5, -v109, s6                                // 000000005A6C: D1050005 20000D6D
	v_mul_f32_e64 v6, -v110, s6                                // 000000005A74: D1050006 20000D6E
	v_mul_f32_e64 v7, -v111, s6                                // 000000005A7C: D1050007 20000D6F
	v_exp_f32_e32 v4, v4                                       // 000000005A84: 7E084104
	v_exp_f32_e32 v5, v5                                       // 000000005A88: 7E0A4105
	v_exp_f32_e32 v6, v6                                       // 000000005A8C: 7E0C4106
	v_exp_f32_e32 v7, v7                                       // 000000005A90: 7E0E4107
	v_add_f32_e64 v4, v4, 1.0                                  // 000000005A94: D1010004 0001E504
	v_add_f32_e64 v5, v5, 1.0                                  // 000000005A9C: D1010005 0001E505
	v_add_f32_e64 v6, v6, 1.0                                  // 000000005AA4: D1010006 0001E506
	v_add_f32_e64 v7, v7, 1.0                                  // 000000005AAC: D1010007 0001E507
	v_rcp_f32_e32 v4, v4                                       // 000000005AB4: 7E084504
	v_rcp_f32_e32 v5, v5                                       // 000000005AB8: 7E0A4505
	v_rcp_f32_e32 v6, v6                                       // 000000005ABC: 7E0C4506
	v_rcp_f32_e32 v7, v7                                       // 000000005AC0: 7E0E4507
	v_mul_f32_e32 v108, v108, v4                               // 000000005AC4: 0AD8096C
	v_mul_f32_e32 v109, v109, v5                               // 000000005AC8: 0ADA0B6D
	v_mul_f32_e32 v110, v110, v6                               // 000000005ACC: 0ADC0D6E
	v_mul_f32_e32 v111, v111, v7                               // 000000005AD0: 0ADE0F6F
	v_mul_f32_e32 v108, v108, v172                             // 000000005AD4: 0AD9596C
	v_mul_f32_e32 v109, v109, v173                             // 000000005AD8: 0ADB5B6D
	v_mul_f32_e32 v110, v110, v174                             // 000000005ADC: 0ADD5D6E
	v_mul_f32_e32 v111, v111, v175                             // 000000005AE0: 0ADF5F6F
	v_mul_f32_e64 v4, -v112, s6                                // 000000005AE4: D1050004 20000D70
	v_mul_f32_e64 v5, -v113, s6                                // 000000005AEC: D1050005 20000D71
	v_mul_f32_e64 v6, -v114, s6                                // 000000005AF4: D1050006 20000D72
	v_mul_f32_e64 v7, -v115, s6                                // 000000005AFC: D1050007 20000D73
	v_exp_f32_e32 v4, v4                                       // 000000005B04: 7E084104
	v_exp_f32_e32 v5, v5                                       // 000000005B08: 7E0A4105
	v_exp_f32_e32 v6, v6                                       // 000000005B0C: 7E0C4106
	v_exp_f32_e32 v7, v7                                       // 000000005B10: 7E0E4107
	v_add_f32_e64 v4, v4, 1.0                                  // 000000005B14: D1010004 0001E504
	v_add_f32_e64 v5, v5, 1.0                                  // 000000005B1C: D1010005 0001E505
	v_add_f32_e64 v6, v6, 1.0                                  // 000000005B24: D1010006 0001E506
	v_add_f32_e64 v7, v7, 1.0                                  // 000000005B2C: D1010007 0001E507
	v_rcp_f32_e32 v4, v4                                       // 000000005B34: 7E084504
	v_rcp_f32_e32 v5, v5                                       // 000000005B38: 7E0A4505
	v_rcp_f32_e32 v6, v6                                       // 000000005B3C: 7E0C4506
	v_rcp_f32_e32 v7, v7                                       // 000000005B40: 7E0E4507
	v_mul_f32_e32 v112, v112, v4                               // 000000005B44: 0AE00970
	v_mul_f32_e32 v113, v113, v5                               // 000000005B48: 0AE20B71
	v_mul_f32_e32 v114, v114, v6                               // 000000005B4C: 0AE40D72
	v_mul_f32_e32 v115, v115, v7                               // 000000005B50: 0AE60F73
	v_mul_f32_e32 v112, v112, v176                             // 000000005B54: 0AE16170
	v_mul_f32_e32 v113, v113, v177                             // 000000005B58: 0AE36371
	v_mul_f32_e32 v114, v114, v178                             // 000000005B5C: 0AE56572
	v_mul_f32_e32 v115, v115, v179                             // 000000005B60: 0AE76773
	v_mul_f32_e64 v4, -v116, s6                                // 000000005B64: D1050004 20000D74
	v_mul_f32_e64 v5, -v117, s6                                // 000000005B6C: D1050005 20000D75
	v_mul_f32_e64 v6, -v118, s6                                // 000000005B74: D1050006 20000D76
	v_mul_f32_e64 v7, -v119, s6                                // 000000005B7C: D1050007 20000D77
	v_exp_f32_e32 v4, v4                                       // 000000005B84: 7E084104
	v_exp_f32_e32 v5, v5                                       // 000000005B88: 7E0A4105
	v_exp_f32_e32 v6, v6                                       // 000000005B8C: 7E0C4106
	v_exp_f32_e32 v7, v7                                       // 000000005B90: 7E0E4107
	v_add_f32_e64 v4, v4, 1.0                                  // 000000005B94: D1010004 0001E504
	v_add_f32_e64 v5, v5, 1.0                                  // 000000005B9C: D1010005 0001E505
	v_add_f32_e64 v6, v6, 1.0                                  // 000000005BA4: D1010006 0001E506
	v_add_f32_e64 v7, v7, 1.0                                  // 000000005BAC: D1010007 0001E507
	v_rcp_f32_e32 v4, v4                                       // 000000005BB4: 7E084504
	v_rcp_f32_e32 v5, v5                                       // 000000005BB8: 7E0A4505
	v_rcp_f32_e32 v6, v6                                       // 000000005BBC: 7E0C4506
	v_rcp_f32_e32 v7, v7                                       // 000000005BC0: 7E0E4507
	v_mul_f32_e32 v116, v116, v4                               // 000000005BC4: 0AE80974
	v_mul_f32_e32 v117, v117, v5                               // 000000005BC8: 0AEA0B75
	v_mul_f32_e32 v118, v118, v6                               // 000000005BCC: 0AEC0D76
	v_mul_f32_e32 v119, v119, v7                               // 000000005BD0: 0AEE0F77
	v_mul_f32_e32 v116, v116, v180                             // 000000005BD4: 0AE96974
	v_mul_f32_e32 v117, v117, v181                             // 000000005BD8: 0AEB6B75
	v_mul_f32_e32 v118, v118, v182                             // 000000005BDC: 0AED6D76
	v_mul_f32_e32 v119, v119, v183                             // 000000005BE0: 0AEF6F77
	v_mul_f32_e64 v4, -v120, s6                                // 000000005BE4: D1050004 20000D78
	v_mul_f32_e64 v5, -v121, s6                                // 000000005BEC: D1050005 20000D79
	v_mul_f32_e64 v6, -v122, s6                                // 000000005BF4: D1050006 20000D7A
	v_mul_f32_e64 v7, -v123, s6                                // 000000005BFC: D1050007 20000D7B
	v_exp_f32_e32 v4, v4                                       // 000000005C04: 7E084104
	v_exp_f32_e32 v5, v5                                       // 000000005C08: 7E0A4105
	v_exp_f32_e32 v6, v6                                       // 000000005C0C: 7E0C4106
	v_exp_f32_e32 v7, v7                                       // 000000005C10: 7E0E4107
	v_add_f32_e64 v4, v4, 1.0                                  // 000000005C14: D1010004 0001E504
	v_add_f32_e64 v5, v5, 1.0                                  // 000000005C1C: D1010005 0001E505
	v_add_f32_e64 v6, v6, 1.0                                  // 000000005C24: D1010006 0001E506
	v_add_f32_e64 v7, v7, 1.0                                  // 000000005C2C: D1010007 0001E507
	v_rcp_f32_e32 v4, v4                                       // 000000005C34: 7E084504
	v_rcp_f32_e32 v5, v5                                       // 000000005C38: 7E0A4505
	v_rcp_f32_e32 v6, v6                                       // 000000005C3C: 7E0C4506
	v_rcp_f32_e32 v7, v7                                       // 000000005C40: 7E0E4507
	v_mul_f32_e32 v120, v120, v4                               // 000000005C44: 0AF00978
	v_mul_f32_e32 v121, v121, v5                               // 000000005C48: 0AF20B79
	v_mul_f32_e32 v122, v122, v6                               // 000000005C4C: 0AF40D7A
	v_mul_f32_e32 v123, v123, v7                               // 000000005C50: 0AF60F7B
	v_mul_f32_e32 v120, v120, v184                             // 000000005C54: 0AF17178
	v_mul_f32_e32 v121, v121, v185                             // 000000005C58: 0AF37379
	v_mul_f32_e32 v122, v122, v186                             // 000000005C5C: 0AF5757A
	v_mul_f32_e32 v123, v123, v187                             // 000000005C60: 0AF7777B
	v_mul_f32_e64 v4, -v124, s6                                // 000000005C64: D1050004 20000D7C
	v_mul_f32_e64 v5, -v125, s6                                // 000000005C6C: D1050005 20000D7D
	v_mul_f32_e64 v6, -v126, s6                                // 000000005C74: D1050006 20000D7E
	v_mul_f32_e64 v7, -v127, s6                                // 000000005C7C: D1050007 20000D7F
	v_exp_f32_e32 v4, v4                                       // 000000005C84: 7E084104
	v_exp_f32_e32 v5, v5                                       // 000000005C88: 7E0A4105
	v_exp_f32_e32 v6, v6                                       // 000000005C8C: 7E0C4106
	v_exp_f32_e32 v7, v7                                       // 000000005C90: 7E0E4107
	v_add_f32_e64 v4, v4, 1.0                                  // 000000005C94: D1010004 0001E504
	v_add_f32_e64 v5, v5, 1.0                                  // 000000005C9C: D1010005 0001E505
	v_add_f32_e64 v6, v6, 1.0                                  // 000000005CA4: D1010006 0001E506
	v_add_f32_e64 v7, v7, 1.0                                  // 000000005CAC: D1010007 0001E507
	v_rcp_f32_e32 v4, v4                                       // 000000005CB4: 7E084504
	v_rcp_f32_e32 v5, v5                                       // 000000005CB8: 7E0A4505
	v_rcp_f32_e32 v6, v6                                       // 000000005CBC: 7E0C4506
	v_rcp_f32_e32 v7, v7                                       // 000000005CC0: 7E0E4507
	v_mul_f32_e32 v124, v124, v4                               // 000000005CC4: 0AF8097C
	v_mul_f32_e32 v125, v125, v5                               // 000000005CC8: 0AFA0B7D
	v_mul_f32_e32 v126, v126, v6                               // 000000005CCC: 0AFC0D7E
	v_mul_f32_e32 v127, v127, v7                               // 000000005CD0: 0AFE0F7F
	v_mul_f32_e32 v124, v124, v188                             // 000000005CD4: 0AF9797C
	v_mul_f32_e32 v125, v125, v189                             // 000000005CD8: 0AFB7B7D
	v_mul_f32_e32 v126, v126, v190                             // 000000005CDC: 0AFD7D7E
	v_mul_f32_e32 v127, v127, v191                             // 000000005CE0: 0AFF7F7F
	v_mul_f32_e64 v4, -v128, s6                                // 000000005CE4: D1050004 20000D80
	v_mul_f32_e64 v5, -v129, s6                                // 000000005CEC: D1050005 20000D81
	v_mul_f32_e64 v6, -v130, s6                                // 000000005CF4: D1050006 20000D82
	v_mul_f32_e64 v7, -v131, s6                                // 000000005CFC: D1050007 20000D83
	v_exp_f32_e32 v4, v4                                       // 000000005D04: 7E084104
	v_exp_f32_e32 v5, v5                                       // 000000005D08: 7E0A4105
	v_exp_f32_e32 v6, v6                                       // 000000005D0C: 7E0C4106
	v_exp_f32_e32 v7, v7                                       // 000000005D10: 7E0E4107
	v_add_f32_e64 v4, v4, 1.0                                  // 000000005D14: D1010004 0001E504
	v_add_f32_e64 v5, v5, 1.0                                  // 000000005D1C: D1010005 0001E505
	v_add_f32_e64 v6, v6, 1.0                                  // 000000005D24: D1010006 0001E506
	v_add_f32_e64 v7, v7, 1.0                                  // 000000005D2C: D1010007 0001E507
	v_rcp_f32_e32 v4, v4                                       // 000000005D34: 7E084504
	v_rcp_f32_e32 v5, v5                                       // 000000005D38: 7E0A4505
	v_rcp_f32_e32 v6, v6                                       // 000000005D3C: 7E0C4506
	v_rcp_f32_e32 v7, v7                                       // 000000005D40: 7E0E4507
	v_mul_f32_e32 v128, v128, v4                               // 000000005D44: 0B000980
	v_mul_f32_e32 v129, v129, v5                               // 000000005D48: 0B020B81
	v_mul_f32_e32 v130, v130, v6                               // 000000005D4C: 0B040D82
	v_mul_f32_e32 v131, v131, v7                               // 000000005D50: 0B060F83
	v_mul_f32_e32 v128, v128, v192                             // 000000005D54: 0B018180
	v_mul_f32_e32 v129, v129, v193                             // 000000005D58: 0B038381
	v_mul_f32_e32 v130, v130, v194                             // 000000005D5C: 0B058582
	v_mul_f32_e32 v131, v131, v195                             // 000000005D60: 0B078783
	v_mul_f32_e64 v4, -v132, s6                                // 000000005D64: D1050004 20000D84
	v_mul_f32_e64 v5, -v133, s6                                // 000000005D6C: D1050005 20000D85
	v_mul_f32_e64 v6, -v134, s6                                // 000000005D74: D1050006 20000D86
	v_mul_f32_e64 v7, -v135, s6                                // 000000005D7C: D1050007 20000D87
	v_exp_f32_e32 v4, v4                                       // 000000005D84: 7E084104
	v_exp_f32_e32 v5, v5                                       // 000000005D88: 7E0A4105
	v_exp_f32_e32 v6, v6                                       // 000000005D8C: 7E0C4106
	v_exp_f32_e32 v7, v7                                       // 000000005D90: 7E0E4107
	v_add_f32_e64 v4, v4, 1.0                                  // 000000005D94: D1010004 0001E504
	v_add_f32_e64 v5, v5, 1.0                                  // 000000005D9C: D1010005 0001E505
	v_add_f32_e64 v6, v6, 1.0                                  // 000000005DA4: D1010006 0001E506
	v_add_f32_e64 v7, v7, 1.0                                  // 000000005DAC: D1010007 0001E507
	v_rcp_f32_e32 v4, v4                                       // 000000005DB4: 7E084504
	v_rcp_f32_e32 v5, v5                                       // 000000005DB8: 7E0A4505
	v_rcp_f32_e32 v6, v6                                       // 000000005DBC: 7E0C4506
	v_rcp_f32_e32 v7, v7                                       // 000000005DC0: 7E0E4507
	v_mul_f32_e32 v132, v132, v4                               // 000000005DC4: 0B080984
	v_mul_f32_e32 v133, v133, v5                               // 000000005DC8: 0B0A0B85
	v_mul_f32_e32 v134, v134, v6                               // 000000005DCC: 0B0C0D86
	v_mul_f32_e32 v135, v135, v7                               // 000000005DD0: 0B0E0F87
	v_mul_f32_e32 v132, v132, v196                             // 000000005DD4: 0B098984
	v_mul_f32_e32 v133, v133, v197                             // 000000005DD8: 0B0B8B85
	v_mul_f32_e32 v134, v134, v198                             // 000000005DDC: 0B0D8D86
	v_mul_f32_e32 v135, v135, v199                             // 000000005DE0: 0B0F8F87
	v_mul_f32_e64 v4, -v136, s6                                // 000000005DE4: D1050004 20000D88
	v_mul_f32_e64 v5, -v137, s6                                // 000000005DEC: D1050005 20000D89
	v_mul_f32_e64 v6, -v138, s6                                // 000000005DF4: D1050006 20000D8A
	v_mul_f32_e64 v7, -v139, s6                                // 000000005DFC: D1050007 20000D8B
	v_exp_f32_e32 v4, v4                                       // 000000005E04: 7E084104
	v_exp_f32_e32 v5, v5                                       // 000000005E08: 7E0A4105
	v_exp_f32_e32 v6, v6                                       // 000000005E0C: 7E0C4106
	v_exp_f32_e32 v7, v7                                       // 000000005E10: 7E0E4107
	v_add_f32_e64 v4, v4, 1.0                                  // 000000005E14: D1010004 0001E504
	v_add_f32_e64 v5, v5, 1.0                                  // 000000005E1C: D1010005 0001E505
	v_add_f32_e64 v6, v6, 1.0                                  // 000000005E24: D1010006 0001E506
	v_add_f32_e64 v7, v7, 1.0                                  // 000000005E2C: D1010007 0001E507
	v_rcp_f32_e32 v4, v4                                       // 000000005E34: 7E084504
	v_rcp_f32_e32 v5, v5                                       // 000000005E38: 7E0A4505
	v_rcp_f32_e32 v6, v6                                       // 000000005E3C: 7E0C4506
	v_rcp_f32_e32 v7, v7                                       // 000000005E40: 7E0E4507
	v_mul_f32_e32 v136, v136, v4                               // 000000005E44: 0B100988
	v_mul_f32_e32 v137, v137, v5                               // 000000005E48: 0B120B89
	v_mul_f32_e32 v138, v138, v6                               // 000000005E4C: 0B140D8A
	v_mul_f32_e32 v139, v139, v7                               // 000000005E50: 0B160F8B
	v_mul_f32_e32 v136, v136, v200                             // 000000005E54: 0B119188
	v_mul_f32_e32 v137, v137, v201                             // 000000005E58: 0B139389
	v_mul_f32_e32 v138, v138, v202                             // 000000005E5C: 0B15958A
	v_mul_f32_e32 v139, v139, v203                             // 000000005E60: 0B17978B
	v_mul_f32_e64 v4, -v140, s6                                // 000000005E64: D1050004 20000D8C
	v_mul_f32_e64 v5, -v141, s6                                // 000000005E6C: D1050005 20000D8D
	v_mul_f32_e64 v6, -v142, s6                                // 000000005E74: D1050006 20000D8E
	v_mul_f32_e64 v7, -v143, s6                                // 000000005E7C: D1050007 20000D8F
	v_exp_f32_e32 v4, v4                                       // 000000005E84: 7E084104
	v_exp_f32_e32 v5, v5                                       // 000000005E88: 7E0A4105
	v_exp_f32_e32 v6, v6                                       // 000000005E8C: 7E0C4106
	v_exp_f32_e32 v7, v7                                       // 000000005E90: 7E0E4107
	v_add_f32_e64 v4, v4, 1.0                                  // 000000005E94: D1010004 0001E504
	v_add_f32_e64 v5, v5, 1.0                                  // 000000005E9C: D1010005 0001E505
	v_add_f32_e64 v6, v6, 1.0                                  // 000000005EA4: D1010006 0001E506
	v_add_f32_e64 v7, v7, 1.0                                  // 000000005EAC: D1010007 0001E507
	v_rcp_f32_e32 v4, v4                                       // 000000005EB4: 7E084504
	v_rcp_f32_e32 v5, v5                                       // 000000005EB8: 7E0A4505
	v_rcp_f32_e32 v6, v6                                       // 000000005EBC: 7E0C4506
	v_rcp_f32_e32 v7, v7                                       // 000000005EC0: 7E0E4507
	v_mul_f32_e32 v140, v140, v4                               // 000000005EC4: 0B18098C
	v_mul_f32_e32 v141, v141, v5                               // 000000005EC8: 0B1A0B8D
	v_mul_f32_e32 v142, v142, v6                               // 000000005ECC: 0B1C0D8E
	v_mul_f32_e32 v143, v143, v7                               // 000000005ED0: 0B1E0F8F
	v_mul_f32_e32 v140, v140, v204                             // 000000005ED4: 0B19998C
	v_mul_f32_e32 v141, v141, v205                             // 000000005ED8: 0B1B9B8D
	v_mul_f32_e32 v142, v142, v206                             // 000000005EDC: 0B1D9D8E
	v_mul_f32_e32 v143, v143, v207                             // 000000005EE0: 0B1F9F8F

0000000000005ee4 <label_0D39>:
	v_cmp_u_f32_e64 s[46:47], v80, v80                         // 000000005EE4: D048002E 0002A150
	v_add3_u32 v16, v80, v19, 1                                // 000000005EEC: D1FF0010 02062750
	v_cndmask_b32_e64 v4, v16, v18, s[46:47]                   // 000000005EF4: D1000004 00BA2510
	v_cmp_u_f32_e64 s[46:47], v81, v81                         // 000000005EFC: D048002E 0002A351
	v_add3_u32 v16, v81, v19, 1                                // 000000005F04: D1FF0010 02062751
	v_cndmask_b32_e64 v5, v16, v18, s[46:47]                   // 000000005F0C: D1000005 00BA2510
	v_perm_b32 v80, v5, v4, s52                                // 000000005F14: D1ED0050 00D20905
	v_cmp_u_f32_e64 s[46:47], v82, v82                         // 000000005F1C: D048002E 0002A552
	v_add3_u32 v16, v82, v19, 1                                // 000000005F24: D1FF0010 02062752
	v_cndmask_b32_e64 v4, v16, v18, s[46:47]                   // 000000005F2C: D1000004 00BA2510
	v_cmp_u_f32_e64 s[46:47], v83, v83                         // 000000005F34: D048002E 0002A753
	v_add3_u32 v16, v83, v19, 1                                // 000000005F3C: D1FF0010 02062753
	v_cndmask_b32_e64 v5, v16, v18, s[46:47]                   // 000000005F44: D1000005 00BA2510
	v_perm_b32 v81, v5, v4, s52                                // 000000005F4C: D1ED0051 00D20905
	v_cmp_u_f32_e64 s[46:47], v84, v84                         // 000000005F54: D048002E 0002A954
	v_add3_u32 v16, v84, v19, 1                                // 000000005F5C: D1FF0010 02062754
	v_cndmask_b32_e64 v4, v16, v18, s[46:47]                   // 000000005F64: D1000004 00BA2510
	v_cmp_u_f32_e64 s[46:47], v85, v85                         // 000000005F6C: D048002E 0002AB55
	v_add3_u32 v16, v85, v19, 1                                // 000000005F74: D1FF0010 02062755
	v_cndmask_b32_e64 v5, v16, v18, s[46:47]                   // 000000005F7C: D1000005 00BA2510
	v_perm_b32 v82, v5, v4, s52                                // 000000005F84: D1ED0052 00D20905
	v_cmp_u_f32_e64 s[46:47], v86, v86                         // 000000005F8C: D048002E 0002AD56
	v_add3_u32 v16, v86, v19, 1                                // 000000005F94: D1FF0010 02062756
	v_cndmask_b32_e64 v4, v16, v18, s[46:47]                   // 000000005F9C: D1000004 00BA2510
	v_cmp_u_f32_e64 s[46:47], v87, v87                         // 000000005FA4: D048002E 0002AF57
	v_add3_u32 v16, v87, v19, 1                                // 000000005FAC: D1FF0010 02062757
	v_cndmask_b32_e64 v5, v16, v18, s[46:47]                   // 000000005FB4: D1000005 00BA2510
	v_perm_b32 v83, v5, v4, s52                                // 000000005FBC: D1ED0053 00D20905
	v_cmp_u_f32_e64 s[46:47], v88, v88                         // 000000005FC4: D048002E 0002B158
	v_add3_u32 v16, v88, v19, 1                                // 000000005FCC: D1FF0010 02062758
	v_cndmask_b32_e64 v4, v16, v18, s[46:47]                   // 000000005FD4: D1000004 00BA2510
	v_cmp_u_f32_e64 s[46:47], v89, v89                         // 000000005FDC: D048002E 0002B359
	v_add3_u32 v16, v89, v19, 1                                // 000000005FE4: D1FF0010 02062759
	v_cndmask_b32_e64 v5, v16, v18, s[46:47]                   // 000000005FEC: D1000005 00BA2510
	v_perm_b32 v84, v5, v4, s52                                // 000000005FF4: D1ED0054 00D20905
	v_cmp_u_f32_e64 s[46:47], v90, v90                         // 000000005FFC: D048002E 0002B55A
	v_add3_u32 v16, v90, v19, 1                                // 000000006004: D1FF0010 0206275A
	v_cndmask_b32_e64 v4, v16, v18, s[46:47]                   // 00000000600C: D1000004 00BA2510
	v_cmp_u_f32_e64 s[46:47], v91, v91                         // 000000006014: D048002E 0002B75B
	v_add3_u32 v16, v91, v19, 1                                // 00000000601C: D1FF0010 0206275B
	v_cndmask_b32_e64 v5, v16, v18, s[46:47]                   // 000000006024: D1000005 00BA2510
	v_perm_b32 v85, v5, v4, s52                                // 00000000602C: D1ED0055 00D20905
	v_cmp_u_f32_e64 s[46:47], v92, v92                         // 000000006034: D048002E 0002B95C
	v_add3_u32 v16, v92, v19, 1                                // 00000000603C: D1FF0010 0206275C
	v_cndmask_b32_e64 v4, v16, v18, s[46:47]                   // 000000006044: D1000004 00BA2510
	v_cmp_u_f32_e64 s[46:47], v93, v93                         // 00000000604C: D048002E 0002BB5D
	v_add3_u32 v16, v93, v19, 1                                // 000000006054: D1FF0010 0206275D
	v_cndmask_b32_e64 v5, v16, v18, s[46:47]                   // 00000000605C: D1000005 00BA2510
	v_perm_b32 v86, v5, v4, s52                                // 000000006064: D1ED0056 00D20905
	v_cmp_u_f32_e64 s[46:47], v94, v94                         // 00000000606C: D048002E 0002BD5E
	v_add3_u32 v16, v94, v19, 1                                // 000000006074: D1FF0010 0206275E
	v_cndmask_b32_e64 v4, v16, v18, s[46:47]                   // 00000000607C: D1000004 00BA2510
	v_cmp_u_f32_e64 s[46:47], v95, v95                         // 000000006084: D048002E 0002BF5F
	v_add3_u32 v16, v95, v19, 1                                // 00000000608C: D1FF0010 0206275F
	v_cndmask_b32_e64 v5, v16, v18, s[46:47]                   // 000000006094: D1000005 00BA2510
	v_perm_b32 v87, v5, v4, s52                                // 00000000609C: D1ED0057 00D20905
	v_cmp_u_f32_e64 s[46:47], v96, v96                         // 0000000060A4: D048002E 0002C160
	v_add3_u32 v16, v96, v19, 1                                // 0000000060AC: D1FF0010 02062760
	v_cndmask_b32_e64 v4, v16, v18, s[46:47]                   // 0000000060B4: D1000004 00BA2510
	v_cmp_u_f32_e64 s[46:47], v97, v97                         // 0000000060BC: D048002E 0002C361
	v_add3_u32 v16, v97, v19, 1                                // 0000000060C4: D1FF0010 02062761
	v_cndmask_b32_e64 v5, v16, v18, s[46:47]                   // 0000000060CC: D1000005 00BA2510
	v_perm_b32 v88, v5, v4, s52                                // 0000000060D4: D1ED0058 00D20905
	v_cmp_u_f32_e64 s[46:47], v98, v98                         // 0000000060DC: D048002E 0002C562
	v_add3_u32 v16, v98, v19, 1                                // 0000000060E4: D1FF0010 02062762
	v_cndmask_b32_e64 v4, v16, v18, s[46:47]                   // 0000000060EC: D1000004 00BA2510
	v_cmp_u_f32_e64 s[46:47], v99, v99                         // 0000000060F4: D048002E 0002C763
	v_add3_u32 v16, v99, v19, 1                                // 0000000060FC: D1FF0010 02062763
	v_cndmask_b32_e64 v5, v16, v18, s[46:47]                   // 000000006104: D1000005 00BA2510
	v_perm_b32 v89, v5, v4, s52                                // 00000000610C: D1ED0059 00D20905
	v_cmp_u_f32_e64 s[46:47], v100, v100                       // 000000006114: D048002E 0002C964
	v_add3_u32 v16, v100, v19, 1                               // 00000000611C: D1FF0010 02062764
	v_cndmask_b32_e64 v4, v16, v18, s[46:47]                   // 000000006124: D1000004 00BA2510
	v_cmp_u_f32_e64 s[46:47], v101, v101                       // 00000000612C: D048002E 0002CB65
	v_add3_u32 v16, v101, v19, 1                               // 000000006134: D1FF0010 02062765
	v_cndmask_b32_e64 v5, v16, v18, s[46:47]                   // 00000000613C: D1000005 00BA2510
	v_perm_b32 v90, v5, v4, s52                                // 000000006144: D1ED005A 00D20905
	v_cmp_u_f32_e64 s[46:47], v102, v102                       // 00000000614C: D048002E 0002CD66
	v_add3_u32 v16, v102, v19, 1                               // 000000006154: D1FF0010 02062766
	v_cndmask_b32_e64 v4, v16, v18, s[46:47]                   // 00000000615C: D1000004 00BA2510
	v_cmp_u_f32_e64 s[46:47], v103, v103                       // 000000006164: D048002E 0002CF67
	v_add3_u32 v16, v103, v19, 1                               // 00000000616C: D1FF0010 02062767
	v_cndmask_b32_e64 v5, v16, v18, s[46:47]                   // 000000006174: D1000005 00BA2510
	v_perm_b32 v91, v5, v4, s52                                // 00000000617C: D1ED005B 00D20905
	v_cmp_u_f32_e64 s[46:47], v104, v104                       // 000000006184: D048002E 0002D168
	v_add3_u32 v16, v104, v19, 1                               // 00000000618C: D1FF0010 02062768
	v_cndmask_b32_e64 v4, v16, v18, s[46:47]                   // 000000006194: D1000004 00BA2510
	v_cmp_u_f32_e64 s[46:47], v105, v105                       // 00000000619C: D048002E 0002D369
	v_add3_u32 v16, v105, v19, 1                               // 0000000061A4: D1FF0010 02062769
	v_cndmask_b32_e64 v5, v16, v18, s[46:47]                   // 0000000061AC: D1000005 00BA2510
	v_perm_b32 v92, v5, v4, s52                                // 0000000061B4: D1ED005C 00D20905
	v_cmp_u_f32_e64 s[46:47], v106, v106                       // 0000000061BC: D048002E 0002D56A
	v_add3_u32 v16, v106, v19, 1                               // 0000000061C4: D1FF0010 0206276A
	v_cndmask_b32_e64 v4, v16, v18, s[46:47]                   // 0000000061CC: D1000004 00BA2510
	v_cmp_u_f32_e64 s[46:47], v107, v107                       // 0000000061D4: D048002E 0002D76B
	v_add3_u32 v16, v107, v19, 1                               // 0000000061DC: D1FF0010 0206276B
	v_cndmask_b32_e64 v5, v16, v18, s[46:47]                   // 0000000061E4: D1000005 00BA2510
	v_perm_b32 v93, v5, v4, s52                                // 0000000061EC: D1ED005D 00D20905
	v_cmp_u_f32_e64 s[46:47], v108, v108                       // 0000000061F4: D048002E 0002D96C
	v_add3_u32 v16, v108, v19, 1                               // 0000000061FC: D1FF0010 0206276C
	v_cndmask_b32_e64 v4, v16, v18, s[46:47]                   // 000000006204: D1000004 00BA2510
	v_cmp_u_f32_e64 s[46:47], v109, v109                       // 00000000620C: D048002E 0002DB6D
	v_add3_u32 v16, v109, v19, 1                               // 000000006214: D1FF0010 0206276D
	v_cndmask_b32_e64 v5, v16, v18, s[46:47]                   // 00000000621C: D1000005 00BA2510
	v_perm_b32 v94, v5, v4, s52                                // 000000006224: D1ED005E 00D20905
	v_cmp_u_f32_e64 s[46:47], v110, v110                       // 00000000622C: D048002E 0002DD6E
	v_add3_u32 v16, v110, v19, 1                               // 000000006234: D1FF0010 0206276E
	v_cndmask_b32_e64 v4, v16, v18, s[46:47]                   // 00000000623C: D1000004 00BA2510
	v_cmp_u_f32_e64 s[46:47], v111, v111                       // 000000006244: D048002E 0002DF6F
	v_add3_u32 v16, v111, v19, 1                               // 00000000624C: D1FF0010 0206276F
	v_cndmask_b32_e64 v5, v16, v18, s[46:47]                   // 000000006254: D1000005 00BA2510
	v_perm_b32 v95, v5, v4, s52                                // 00000000625C: D1ED005F 00D20905
	v_cmp_u_f32_e64 s[46:47], v112, v112                       // 000000006264: D048002E 0002E170
	v_add3_u32 v16, v112, v19, 1                               // 00000000626C: D1FF0010 02062770
	v_cndmask_b32_e64 v4, v16, v18, s[46:47]                   // 000000006274: D1000004 00BA2510
	v_cmp_u_f32_e64 s[46:47], v113, v113                       // 00000000627C: D048002E 0002E371
	v_add3_u32 v16, v113, v19, 1                               // 000000006284: D1FF0010 02062771
	v_cndmask_b32_e64 v5, v16, v18, s[46:47]                   // 00000000628C: D1000005 00BA2510
	v_perm_b32 v96, v5, v4, s52                                // 000000006294: D1ED0060 00D20905
	v_cmp_u_f32_e64 s[46:47], v114, v114                       // 00000000629C: D048002E 0002E572
	v_add3_u32 v16, v114, v19, 1                               // 0000000062A4: D1FF0010 02062772
	v_cndmask_b32_e64 v4, v16, v18, s[46:47]                   // 0000000062AC: D1000004 00BA2510
	v_cmp_u_f32_e64 s[46:47], v115, v115                       // 0000000062B4: D048002E 0002E773
	v_add3_u32 v16, v115, v19, 1                               // 0000000062BC: D1FF0010 02062773
	v_cndmask_b32_e64 v5, v16, v18, s[46:47]                   // 0000000062C4: D1000005 00BA2510
	v_perm_b32 v97, v5, v4, s52                                // 0000000062CC: D1ED0061 00D20905
	v_cmp_u_f32_e64 s[46:47], v116, v116                       // 0000000062D4: D048002E 0002E974
	v_add3_u32 v16, v116, v19, 1                               // 0000000062DC: D1FF0010 02062774
	v_cndmask_b32_e64 v4, v16, v18, s[46:47]                   // 0000000062E4: D1000004 00BA2510
	v_cmp_u_f32_e64 s[46:47], v117, v117                       // 0000000062EC: D048002E 0002EB75
	v_add3_u32 v16, v117, v19, 1                               // 0000000062F4: D1FF0010 02062775
	v_cndmask_b32_e64 v5, v16, v18, s[46:47]                   // 0000000062FC: D1000005 00BA2510
	v_perm_b32 v98, v5, v4, s52                                // 000000006304: D1ED0062 00D20905
	v_cmp_u_f32_e64 s[46:47], v118, v118                       // 00000000630C: D048002E 0002ED76
	v_add3_u32 v16, v118, v19, 1                               // 000000006314: D1FF0010 02062776
	v_cndmask_b32_e64 v4, v16, v18, s[46:47]                   // 00000000631C: D1000004 00BA2510
	v_cmp_u_f32_e64 s[46:47], v119, v119                       // 000000006324: D048002E 0002EF77
	v_add3_u32 v16, v119, v19, 1                               // 00000000632C: D1FF0010 02062777
	v_cndmask_b32_e64 v5, v16, v18, s[46:47]                   // 000000006334: D1000005 00BA2510
	v_perm_b32 v99, v5, v4, s52                                // 00000000633C: D1ED0063 00D20905
	v_cmp_u_f32_e64 s[46:47], v120, v120                       // 000000006344: D048002E 0002F178
	v_add3_u32 v16, v120, v19, 1                               // 00000000634C: D1FF0010 02062778
	v_cndmask_b32_e64 v4, v16, v18, s[46:47]                   // 000000006354: D1000004 00BA2510
	v_cmp_u_f32_e64 s[46:47], v121, v121                       // 00000000635C: D048002E 0002F379
	v_add3_u32 v16, v121, v19, 1                               // 000000006364: D1FF0010 02062779
	v_cndmask_b32_e64 v5, v16, v18, s[46:47]                   // 00000000636C: D1000005 00BA2510
	v_perm_b32 v100, v5, v4, s52                               // 000000006374: D1ED0064 00D20905
	v_cmp_u_f32_e64 s[46:47], v122, v122                       // 00000000637C: D048002E 0002F57A
	v_add3_u32 v16, v122, v19, 1                               // 000000006384: D1FF0010 0206277A
	v_cndmask_b32_e64 v4, v16, v18, s[46:47]                   // 00000000638C: D1000004 00BA2510
	v_cmp_u_f32_e64 s[46:47], v123, v123                       // 000000006394: D048002E 0002F77B
	v_add3_u32 v16, v123, v19, 1                               // 00000000639C: D1FF0010 0206277B
	v_cndmask_b32_e64 v5, v16, v18, s[46:47]                   // 0000000063A4: D1000005 00BA2510
	v_perm_b32 v101, v5, v4, s52                               // 0000000063AC: D1ED0065 00D20905
	v_cmp_u_f32_e64 s[46:47], v124, v124                       // 0000000063B4: D048002E 0002F97C
	v_add3_u32 v16, v124, v19, 1                               // 0000000063BC: D1FF0010 0206277C
	v_cndmask_b32_e64 v4, v16, v18, s[46:47]                   // 0000000063C4: D1000004 00BA2510
	v_cmp_u_f32_e64 s[46:47], v125, v125                       // 0000000063CC: D048002E 0002FB7D
	v_add3_u32 v16, v125, v19, 1                               // 0000000063D4: D1FF0010 0206277D
	v_cndmask_b32_e64 v5, v16, v18, s[46:47]                   // 0000000063DC: D1000005 00BA2510
	v_perm_b32 v102, v5, v4, s52                               // 0000000063E4: D1ED0066 00D20905
	v_cmp_u_f32_e64 s[46:47], v126, v126                       // 0000000063EC: D048002E 0002FD7E
	v_add3_u32 v16, v126, v19, 1                               // 0000000063F4: D1FF0010 0206277E
	v_cndmask_b32_e64 v4, v16, v18, s[46:47]                   // 0000000063FC: D1000004 00BA2510
	v_cmp_u_f32_e64 s[46:47], v127, v127                       // 000000006404: D048002E 0002FF7F
	v_add3_u32 v16, v127, v19, 1                               // 00000000640C: D1FF0010 0206277F
	v_cndmask_b32_e64 v5, v16, v18, s[46:47]                   // 000000006414: D1000005 00BA2510
	v_perm_b32 v103, v5, v4, s52                               // 00000000641C: D1ED0067 00D20905
	v_cmp_u_f32_e64 s[46:47], v128, v128                       // 000000006424: D048002E 00030180
	v_add3_u32 v16, v128, v19, 1                               // 00000000642C: D1FF0010 02062780
	v_cndmask_b32_e64 v4, v16, v18, s[46:47]                   // 000000006434: D1000004 00BA2510
	v_cmp_u_f32_e64 s[46:47], v129, v129                       // 00000000643C: D048002E 00030381
	v_add3_u32 v16, v129, v19, 1                               // 000000006444: D1FF0010 02062781
	v_cndmask_b32_e64 v5, v16, v18, s[46:47]                   // 00000000644C: D1000005 00BA2510
	v_perm_b32 v104, v5, v4, s52                               // 000000006454: D1ED0068 00D20905
	v_cmp_u_f32_e64 s[46:47], v130, v130                       // 00000000645C: D048002E 00030582
	v_add3_u32 v16, v130, v19, 1                               // 000000006464: D1FF0010 02062782
	v_cndmask_b32_e64 v4, v16, v18, s[46:47]                   // 00000000646C: D1000004 00BA2510
	v_cmp_u_f32_e64 s[46:47], v131, v131                       // 000000006474: D048002E 00030783
	v_add3_u32 v16, v131, v19, 1                               // 00000000647C: D1FF0010 02062783
	v_cndmask_b32_e64 v5, v16, v18, s[46:47]                   // 000000006484: D1000005 00BA2510
	v_perm_b32 v105, v5, v4, s52                               // 00000000648C: D1ED0069 00D20905
	v_cmp_u_f32_e64 s[46:47], v132, v132                       // 000000006494: D048002E 00030984
	v_add3_u32 v16, v132, v19, 1                               // 00000000649C: D1FF0010 02062784
	v_cndmask_b32_e64 v4, v16, v18, s[46:47]                   // 0000000064A4: D1000004 00BA2510
	v_cmp_u_f32_e64 s[46:47], v133, v133                       // 0000000064AC: D048002E 00030B85
	v_add3_u32 v16, v133, v19, 1                               // 0000000064B4: D1FF0010 02062785
	v_cndmask_b32_e64 v5, v16, v18, s[46:47]                   // 0000000064BC: D1000005 00BA2510
	v_perm_b32 v106, v5, v4, s52                               // 0000000064C4: D1ED006A 00D20905
	v_cmp_u_f32_e64 s[46:47], v134, v134                       // 0000000064CC: D048002E 00030D86
	v_add3_u32 v16, v134, v19, 1                               // 0000000064D4: D1FF0010 02062786
	v_cndmask_b32_e64 v4, v16, v18, s[46:47]                   // 0000000064DC: D1000004 00BA2510
	v_cmp_u_f32_e64 s[46:47], v135, v135                       // 0000000064E4: D048002E 00030F87
	v_add3_u32 v16, v135, v19, 1                               // 0000000064EC: D1FF0010 02062787
	v_cndmask_b32_e64 v5, v16, v18, s[46:47]                   // 0000000064F4: D1000005 00BA2510
	v_perm_b32 v107, v5, v4, s52                               // 0000000064FC: D1ED006B 00D20905
	v_cmp_u_f32_e64 s[46:47], v136, v136                       // 000000006504: D048002E 00031188
	v_add3_u32 v16, v136, v19, 1                               // 00000000650C: D1FF0010 02062788
	v_cndmask_b32_e64 v4, v16, v18, s[46:47]                   // 000000006514: D1000004 00BA2510
	v_cmp_u_f32_e64 s[46:47], v137, v137                       // 00000000651C: D048002E 00031389
	v_add3_u32 v16, v137, v19, 1                               // 000000006524: D1FF0010 02062789
	v_cndmask_b32_e64 v5, v16, v18, s[46:47]                   // 00000000652C: D1000005 00BA2510
	v_perm_b32 v108, v5, v4, s52                               // 000000006534: D1ED006C 00D20905
	v_cmp_u_f32_e64 s[46:47], v138, v138                       // 00000000653C: D048002E 0003158A
	v_add3_u32 v16, v138, v19, 1                               // 000000006544: D1FF0010 0206278A
	v_cndmask_b32_e64 v4, v16, v18, s[46:47]                   // 00000000654C: D1000004 00BA2510
	v_cmp_u_f32_e64 s[46:47], v139, v139                       // 000000006554: D048002E 0003178B
	v_add3_u32 v16, v139, v19, 1                               // 00000000655C: D1FF0010 0206278B
	v_cndmask_b32_e64 v5, v16, v18, s[46:47]                   // 000000006564: D1000005 00BA2510
	v_perm_b32 v109, v5, v4, s52                               // 00000000656C: D1ED006D 00D20905
	v_cmp_u_f32_e64 s[46:47], v140, v140                       // 000000006574: D048002E 0003198C
	v_add3_u32 v16, v140, v19, 1                               // 00000000657C: D1FF0010 0206278C
	v_cndmask_b32_e64 v4, v16, v18, s[46:47]                   // 000000006584: D1000004 00BA2510
	v_cmp_u_f32_e64 s[46:47], v141, v141                       // 00000000658C: D048002E 00031B8D
	v_add3_u32 v16, v141, v19, 1                               // 000000006594: D1FF0010 0206278D
	v_cndmask_b32_e64 v5, v16, v18, s[46:47]                   // 00000000659C: D1000005 00BA2510
	v_perm_b32 v110, v5, v4, s52                               // 0000000065A4: D1ED006E 00D20905
	v_cmp_u_f32_e64 s[46:47], v142, v142                       // 0000000065AC: D048002E 00031D8E
	v_add3_u32 v16, v142, v19, 1                               // 0000000065B4: D1FF0010 0206278E
	v_cndmask_b32_e64 v4, v16, v18, s[46:47]                   // 0000000065BC: D1000004 00BA2510
	v_cmp_u_f32_e64 s[46:47], v143, v143                       // 0000000065C4: D048002E 00031F8F
	v_add3_u32 v16, v143, v19, 1                               // 0000000065CC: D1FF0010 0206278F
	v_cndmask_b32_e64 v5, v16, v18, s[46:47]                   // 0000000065D4: D1000005 00BA2510
	v_perm_b32 v111, v5, v4, s52                               // 0000000065DC: D1ED006F 00D20905
	ds_write_b64 v20, v[80:81]                                 // 0000000065E4: D89A0000 00005014
	ds_write_b64 v20, v[82:83] offset:4352                     // 0000000065EC: D89A1100 00005214
	ds_write_b64 v20, v[84:85] offset:8704                     // 0000000065F4: D89A2200 00005414
	ds_write_b64 v20, v[86:87] offset:13056                    // 0000000065FC: D89A3300 00005614
	ds_write_b64 v20, v[88:89] offset:17408                    // 000000006604: D89A4400 00005814
	ds_write_b64 v20, v[90:91] offset:21760                    // 00000000660C: D89A5500 00005A14
	ds_write_b64 v20, v[92:93] offset:26112                    // 000000006614: D89A6600 00005C14
	ds_write_b64 v20, v[94:95] offset:30464                    // 00000000661C: D89A7700 00005E14
	ds_write_b64 v20, v[96:97] offset:2176                     // 000000006624: D89A0880 00006014
	ds_write_b64 v20, v[98:99] offset:6528                     // 00000000662C: D89A1980 00006214
	ds_write_b64 v20, v[100:101] offset:10880                  // 000000006634: D89A2A80 00006414
	ds_write_b64 v20, v[102:103] offset:15232                  // 00000000663C: D89A3B80 00006614
	ds_write_b64 v20, v[104:105] offset:19584                  // 000000006644: D89A4C80 00006814
	ds_write_b64 v20, v[106:107] offset:23936                  // 00000000664C: D89A5D80 00006A14
	ds_write_b64 v20, v[108:109] offset:28288                  // 000000006654: D89A6E80 00006C14
	ds_write_b64 v20, v[110:111] offset:32640                  // 00000000665C: D89A7F80 00006E14
	v_lshrrev_b32_e32 v4, 5, v0                                // 000000006664: 20080085
	v_xor_b32_e32 v5, 1, v4                                    // 000000006668: 2A0A0881
	s_mul_i32 s60, s65, 2                                      // 00000000666C: 923C8241
	s_cmp_eq_u32 s88, 0                                        // 000000006670: BF068058
	s_cselect_b32 s61, 1, 4                                    // 000000006674: 853D8481
	s_mul_i32 s60, s61, s60                                    // 000000006678: 923C3C3D
	v_readlane_b32 s82, v3, 0                                  // 00000000667C: D2890052 00010103
	s_lshr_b32 s61, s82, 24                                    // 000000006684: 8F3D9852
	s_and_b32 s82, s82, 0xffffff                               // 000000006688: 8652FF52 00FFFFFF
	s_mul_i32 s82, s82, s71                                    // 000000006690: 92524752
	s_mul_i32 s61, s60, s61                                    // 000000006694: 923D3D3C
	s_add_u32 s82, s82, s61                                    // 000000006698: 80523D52
	v_mul_lo_u32 v6, v5, s82                                   // 00000000669C: D2850006 0000A505
	v_readlane_b32 s82, v3, 1                                  // 0000000066A4: D2890052 00010303
	s_lshr_b32 s61, s82, 24                                    // 0000000066AC: 8F3D9852
	s_and_b32 s82, s82, 0xffffff                               // 0000000066B0: 8652FF52 00FFFFFF
	s_mul_i32 s82, s82, s71                                    // 0000000066B8: 92524752
	s_mul_i32 s61, s60, s61                                    // 0000000066BC: 923D3D3C
	s_add_u32 s82, s82, s61                                    // 0000000066C0: 80523D52
	v_mul_lo_u32 v7, v4, s82                                   // 0000000066C4: D2850007 0000A504
	v_add_u32_e32 v60, v6, v7                                  // 0000000066CC: 68780F06
	v_readlane_b32 s82, v3, 2                                  // 0000000066D0: D2890052 00010503
	s_lshr_b32 s61, s82, 24                                    // 0000000066D8: 8F3D9852
	s_and_b32 s82, s82, 0xffffff                               // 0000000066DC: 8652FF52 00FFFFFF
	s_mul_i32 s82, s82, s71                                    // 0000000066E4: 92524752
	s_mul_i32 s61, s60, s61                                    // 0000000066E8: 923D3D3C
	s_add_u32 s82, s82, s61                                    // 0000000066EC: 80523D52
	v_mul_lo_u32 v6, v5, s82                                   // 0000000066F0: D2850006 0000A505
	v_readlane_b32 s82, v3, 3                                  // 0000000066F8: D2890052 00010703
	s_lshr_b32 s61, s82, 24                                    // 000000006700: 8F3D9852
	s_and_b32 s82, s82, 0xffffff                               // 000000006704: 8652FF52 00FFFFFF
	s_mul_i32 s82, s82, s71                                    // 00000000670C: 92524752
	s_mul_i32 s61, s60, s61                                    // 000000006710: 923D3D3C
	s_add_u32 s82, s82, s61                                    // 000000006714: 80523D52
	v_mul_lo_u32 v7, v4, s82                                   // 000000006718: D2850007 0000A504
	v_add_u32_e32 v61, v6, v7                                  // 000000006720: 687A0F06
	v_readlane_b32 s82, v3, 4                                  // 000000006724: D2890052 00010903
	s_lshr_b32 s61, s82, 24                                    // 00000000672C: 8F3D9852
	s_and_b32 s82, s82, 0xffffff                               // 000000006730: 8652FF52 00FFFFFF
	s_mul_i32 s82, s82, s71                                    // 000000006738: 92524752
	s_mul_i32 s61, s60, s61                                    // 00000000673C: 923D3D3C
	s_add_u32 s82, s82, s61                                    // 000000006740: 80523D52
	v_mul_lo_u32 v6, v5, s82                                   // 000000006744: D2850006 0000A505
	v_readlane_b32 s82, v3, 5                                  // 00000000674C: D2890052 00010B03
	s_lshr_b32 s61, s82, 24                                    // 000000006754: 8F3D9852
	s_and_b32 s82, s82, 0xffffff                               // 000000006758: 8652FF52 00FFFFFF
	s_mul_i32 s82, s82, s71                                    // 000000006760: 92524752
	s_mul_i32 s61, s60, s61                                    // 000000006764: 923D3D3C
	s_add_u32 s82, s82, s61                                    // 000000006768: 80523D52
	v_mul_lo_u32 v7, v4, s82                                   // 00000000676C: D2850007 0000A504
	v_add_u32_e32 v62, v6, v7                                  // 000000006774: 687C0F06
	v_readlane_b32 s82, v3, 6                                  // 000000006778: D2890052 00010D03
	s_lshr_b32 s61, s82, 24                                    // 000000006780: 8F3D9852
	s_and_b32 s82, s82, 0xffffff                               // 000000006784: 8652FF52 00FFFFFF
	s_mul_i32 s82, s82, s71                                    // 00000000678C: 92524752
	s_mul_i32 s61, s60, s61                                    // 000000006790: 923D3D3C
	s_add_u32 s82, s82, s61                                    // 000000006794: 80523D52
	v_mul_lo_u32 v6, v5, s82                                   // 000000006798: D2850006 0000A505
	v_readlane_b32 s82, v3, 7                                  // 0000000067A0: D2890052 00010F03
	s_lshr_b32 s61, s82, 24                                    // 0000000067A8: 8F3D9852
	s_and_b32 s82, s82, 0xffffff                               // 0000000067AC: 8652FF52 00FFFFFF
	s_mul_i32 s82, s82, s71                                    // 0000000067B4: 92524752
	s_mul_i32 s61, s60, s61                                    // 0000000067B8: 923D3D3C
	s_add_u32 s82, s82, s61                                    // 0000000067BC: 80523D52
	v_mul_lo_u32 v7, v4, s82                                   // 0000000067C0: D2850007 0000A504
	v_add_u32_e32 v63, v6, v7                                  // 0000000067C8: 687E0F06
	v_readlane_b32 s82, v3, 8                                  // 0000000067CC: D2890052 00011103
	s_lshr_b32 s61, s82, 24                                    // 0000000067D4: 8F3D9852
	s_and_b32 s82, s82, 0xffffff                               // 0000000067D8: 8652FF52 00FFFFFF
	s_mul_i32 s82, s82, s71                                    // 0000000067E0: 92524752
	s_mul_i32 s61, s60, s61                                    // 0000000067E4: 923D3D3C
	s_add_u32 s82, s82, s61                                    // 0000000067E8: 80523D52
	v_mul_lo_u32 v6, v5, s82                                   // 0000000067EC: D2850006 0000A505
	v_readlane_b32 s82, v3, 9                                  // 0000000067F4: D2890052 00011303
	s_lshr_b32 s61, s82, 24                                    // 0000000067FC: 8F3D9852
	s_and_b32 s82, s82, 0xffffff                               // 000000006800: 8652FF52 00FFFFFF
	s_mul_i32 s82, s82, s71                                    // 000000006808: 92524752
	s_mul_i32 s61, s60, s61                                    // 00000000680C: 923D3D3C
	s_add_u32 s82, s82, s61                                    // 000000006810: 80523D52
	v_mul_lo_u32 v7, v4, s82                                   // 000000006814: D2850007 0000A504
	v_add_u32_e32 v64, v6, v7                                  // 00000000681C: 68800F06
	v_readlane_b32 s82, v3, 10                                 // 000000006820: D2890052 00011503
	s_lshr_b32 s61, s82, 24                                    // 000000006828: 8F3D9852
	s_and_b32 s82, s82, 0xffffff                               // 00000000682C: 8652FF52 00FFFFFF
	s_mul_i32 s82, s82, s71                                    // 000000006834: 92524752
	s_mul_i32 s61, s60, s61                                    // 000000006838: 923D3D3C
	s_add_u32 s82, s82, s61                                    // 00000000683C: 80523D52
	v_mul_lo_u32 v6, v5, s82                                   // 000000006840: D2850006 0000A505
	v_readlane_b32 s82, v3, 11                                 // 000000006848: D2890052 00011703
	s_lshr_b32 s61, s82, 24                                    // 000000006850: 8F3D9852
	s_and_b32 s82, s82, 0xffffff                               // 000000006854: 8652FF52 00FFFFFF
	s_mul_i32 s82, s82, s71                                    // 00000000685C: 92524752
	s_mul_i32 s61, s60, s61                                    // 000000006860: 923D3D3C
	s_add_u32 s82, s82, s61                                    // 000000006864: 80523D52
	v_mul_lo_u32 v7, v4, s82                                   // 000000006868: D2850007 0000A504
	v_add_u32_e32 v65, v6, v7                                  // 000000006870: 68820F06
	v_readlane_b32 s82, v3, 12                                 // 000000006874: D2890052 00011903
	s_lshr_b32 s61, s82, 24                                    // 00000000687C: 8F3D9852
	s_and_b32 s82, s82, 0xffffff                               // 000000006880: 8652FF52 00FFFFFF
	s_mul_i32 s82, s82, s71                                    // 000000006888: 92524752
	s_mul_i32 s61, s60, s61                                    // 00000000688C: 923D3D3C
	s_add_u32 s82, s82, s61                                    // 000000006890: 80523D52
	v_mul_lo_u32 v6, v5, s82                                   // 000000006894: D2850006 0000A505
	v_readlane_b32 s82, v3, 13                                 // 00000000689C: D2890052 00011B03
	s_lshr_b32 s61, s82, 24                                    // 0000000068A4: 8F3D9852
	s_and_b32 s82, s82, 0xffffff                               // 0000000068A8: 8652FF52 00FFFFFF
	s_mul_i32 s82, s82, s71                                    // 0000000068B0: 92524752
	s_mul_i32 s61, s60, s61                                    // 0000000068B4: 923D3D3C
	s_add_u32 s82, s82, s61                                    // 0000000068B8: 80523D52
	v_mul_lo_u32 v7, v4, s82                                   // 0000000068BC: D2850007 0000A504
	v_add_u32_e32 v66, v6, v7                                  // 0000000068C4: 68840F06
	v_readlane_b32 s82, v3, 14                                 // 0000000068C8: D2890052 00011D03
	s_lshr_b32 s61, s82, 24                                    // 0000000068D0: 8F3D9852
	s_and_b32 s82, s82, 0xffffff                               // 0000000068D4: 8652FF52 00FFFFFF
	s_mul_i32 s82, s82, s71                                    // 0000000068DC: 92524752
	s_mul_i32 s61, s60, s61                                    // 0000000068E0: 923D3D3C
	s_add_u32 s82, s82, s61                                    // 0000000068E4: 80523D52
	v_mul_lo_u32 v6, v5, s82                                   // 0000000068E8: D2850006 0000A505
	v_readlane_b32 s82, v3, 15                                 // 0000000068F0: D2890052 00011F03
	s_lshr_b32 s61, s82, 24                                    // 0000000068F8: 8F3D9852
	s_and_b32 s82, s82, 0xffffff                               // 0000000068FC: 8652FF52 00FFFFFF
	s_mul_i32 s82, s82, s71                                    // 000000006904: 92524752
	s_mul_i32 s61, s60, s61                                    // 000000006908: 923D3D3C
	s_add_u32 s82, s82, s61                                    // 00000000690C: 80523D52
	v_mul_lo_u32 v7, v4, s82                                   // 000000006910: D2850007 0000A504
	v_add_u32_e32 v67, v6, v7                                  // 000000006918: 68860F06
	v_readlane_b32 s82, v3, 16                                 // 00000000691C: D2890052 00012103
	s_lshr_b32 s61, s82, 24                                    // 000000006924: 8F3D9852
	s_and_b32 s82, s82, 0xffffff                               // 000000006928: 8652FF52 00FFFFFF
	s_mul_i32 s82, s82, s71                                    // 000000006930: 92524752
	s_mul_i32 s61, s60, s61                                    // 000000006934: 923D3D3C
	s_add_u32 s82, s82, s61                                    // 000000006938: 80523D52
	v_mul_lo_u32 v6, v5, s82                                   // 00000000693C: D2850006 0000A505
	v_readlane_b32 s82, v3, 17                                 // 000000006944: D2890052 00012303
	s_lshr_b32 s61, s82, 24                                    // 00000000694C: 8F3D9852
	s_and_b32 s82, s82, 0xffffff                               // 000000006950: 8652FF52 00FFFFFF
	s_mul_i32 s82, s82, s71                                    // 000000006958: 92524752
	s_mul_i32 s61, s60, s61                                    // 00000000695C: 923D3D3C
	s_add_u32 s82, s82, s61                                    // 000000006960: 80523D52
	v_mul_lo_u32 v7, v4, s82                                   // 000000006964: D2850007 0000A504
	v_add_u32_e32 v68, v6, v7                                  // 00000000696C: 68880F06
	v_readlane_b32 s82, v3, 18                                 // 000000006970: D2890052 00012503
	s_lshr_b32 s61, s82, 24                                    // 000000006978: 8F3D9852
	s_and_b32 s82, s82, 0xffffff                               // 00000000697C: 8652FF52 00FFFFFF
	s_mul_i32 s82, s82, s71                                    // 000000006984: 92524752
	s_mul_i32 s61, s60, s61                                    // 000000006988: 923D3D3C
	s_add_u32 s82, s82, s61                                    // 00000000698C: 80523D52
	v_mul_lo_u32 v6, v5, s82                                   // 000000006990: D2850006 0000A505
	v_readlane_b32 s82, v3, 19                                 // 000000006998: D2890052 00012703
	s_lshr_b32 s61, s82, 24                                    // 0000000069A0: 8F3D9852
	s_and_b32 s82, s82, 0xffffff                               // 0000000069A4: 8652FF52 00FFFFFF
	s_mul_i32 s82, s82, s71                                    // 0000000069AC: 92524752
	s_mul_i32 s61, s60, s61                                    // 0000000069B0: 923D3D3C
	s_add_u32 s82, s82, s61                                    // 0000000069B4: 80523D52
	v_mul_lo_u32 v7, v4, s82                                   // 0000000069B8: D2850007 0000A504
	v_add_u32_e32 v69, v6, v7                                  // 0000000069C0: 688A0F06
	v_readlane_b32 s82, v3, 20                                 // 0000000069C4: D2890052 00012903
	s_lshr_b32 s61, s82, 24                                    // 0000000069CC: 8F3D9852
	s_and_b32 s82, s82, 0xffffff                               // 0000000069D0: 8652FF52 00FFFFFF
	s_mul_i32 s82, s82, s71                                    // 0000000069D8: 92524752
	s_mul_i32 s61, s60, s61                                    // 0000000069DC: 923D3D3C
	s_add_u32 s82, s82, s61                                    // 0000000069E0: 80523D52
	v_mul_lo_u32 v6, v5, s82                                   // 0000000069E4: D2850006 0000A505
	v_readlane_b32 s82, v3, 21                                 // 0000000069EC: D2890052 00012B03
	s_lshr_b32 s61, s82, 24                                    // 0000000069F4: 8F3D9852
	s_and_b32 s82, s82, 0xffffff                               // 0000000069F8: 8652FF52 00FFFFFF
	s_mul_i32 s82, s82, s71                                    // 000000006A00: 92524752
	s_mul_i32 s61, s60, s61                                    // 000000006A04: 923D3D3C
	s_add_u32 s82, s82, s61                                    // 000000006A08: 80523D52
	v_mul_lo_u32 v7, v4, s82                                   // 000000006A0C: D2850007 0000A504
	v_add_u32_e32 v70, v6, v7                                  // 000000006A14: 688C0F06
	v_readlane_b32 s82, v3, 22                                 // 000000006A18: D2890052 00012D03
	s_lshr_b32 s61, s82, 24                                    // 000000006A20: 8F3D9852
	s_and_b32 s82, s82, 0xffffff                               // 000000006A24: 8652FF52 00FFFFFF
	s_mul_i32 s82, s82, s71                                    // 000000006A2C: 92524752
	s_mul_i32 s61, s60, s61                                    // 000000006A30: 923D3D3C
	s_add_u32 s82, s82, s61                                    // 000000006A34: 80523D52
	v_mul_lo_u32 v6, v5, s82                                   // 000000006A38: D2850006 0000A505
	v_readlane_b32 s82, v3, 23                                 // 000000006A40: D2890052 00012F03
	s_lshr_b32 s61, s82, 24                                    // 000000006A48: 8F3D9852
	s_and_b32 s82, s82, 0xffffff                               // 000000006A4C: 8652FF52 00FFFFFF
	s_mul_i32 s82, s82, s71                                    // 000000006A54: 92524752
	s_mul_i32 s61, s60, s61                                    // 000000006A58: 923D3D3C
	s_add_u32 s82, s82, s61                                    // 000000006A5C: 80523D52
	v_mul_lo_u32 v7, v4, s82                                   // 000000006A60: D2850007 0000A504
	v_add_u32_e32 v71, v6, v7                                  // 000000006A68: 688E0F06
	v_readlane_b32 s82, v3, 24                                 // 000000006A6C: D2890052 00013103
	s_lshr_b32 s61, s82, 24                                    // 000000006A74: 8F3D9852
	s_and_b32 s82, s82, 0xffffff                               // 000000006A78: 8652FF52 00FFFFFF
	s_mul_i32 s82, s82, s71                                    // 000000006A80: 92524752
	s_mul_i32 s61, s60, s61                                    // 000000006A84: 923D3D3C
	s_add_u32 s82, s82, s61                                    // 000000006A88: 80523D52
	v_mul_lo_u32 v6, v5, s82                                   // 000000006A8C: D2850006 0000A505
	v_readlane_b32 s82, v3, 25                                 // 000000006A94: D2890052 00013303
	s_lshr_b32 s61, s82, 24                                    // 000000006A9C: 8F3D9852
	s_and_b32 s82, s82, 0xffffff                               // 000000006AA0: 8652FF52 00FFFFFF
	s_mul_i32 s82, s82, s71                                    // 000000006AA8: 92524752
	s_mul_i32 s61, s60, s61                                    // 000000006AAC: 923D3D3C
	s_add_u32 s82, s82, s61                                    // 000000006AB0: 80523D52
	v_mul_lo_u32 v7, v4, s82                                   // 000000006AB4: D2850007 0000A504
	v_add_u32_e32 v72, v6, v7                                  // 000000006ABC: 68900F06
	v_readlane_b32 s82, v3, 26                                 // 000000006AC0: D2890052 00013503
	s_lshr_b32 s61, s82, 24                                    // 000000006AC8: 8F3D9852
	s_and_b32 s82, s82, 0xffffff                               // 000000006ACC: 8652FF52 00FFFFFF
	s_mul_i32 s82, s82, s71                                    // 000000006AD4: 92524752
	s_mul_i32 s61, s60, s61                                    // 000000006AD8: 923D3D3C
	s_add_u32 s82, s82, s61                                    // 000000006ADC: 80523D52
	v_mul_lo_u32 v6, v5, s82                                   // 000000006AE0: D2850006 0000A505
	v_readlane_b32 s82, v3, 27                                 // 000000006AE8: D2890052 00013703
	s_lshr_b32 s61, s82, 24                                    // 000000006AF0: 8F3D9852
	s_and_b32 s82, s82, 0xffffff                               // 000000006AF4: 8652FF52 00FFFFFF
	s_mul_i32 s82, s82, s71                                    // 000000006AFC: 92524752
	s_mul_i32 s61, s60, s61                                    // 000000006B00: 923D3D3C
	s_add_u32 s82, s82, s61                                    // 000000006B04: 80523D52
	v_mul_lo_u32 v7, v4, s82                                   // 000000006B08: D2850007 0000A504
	v_add_u32_e32 v73, v6, v7                                  // 000000006B10: 68920F06
	v_readlane_b32 s82, v3, 28                                 // 000000006B14: D2890052 00013903
	s_lshr_b32 s61, s82, 24                                    // 000000006B1C: 8F3D9852
	s_and_b32 s82, s82, 0xffffff                               // 000000006B20: 8652FF52 00FFFFFF
	s_mul_i32 s82, s82, s71                                    // 000000006B28: 92524752
	s_mul_i32 s61, s60, s61                                    // 000000006B2C: 923D3D3C
	s_add_u32 s82, s82, s61                                    // 000000006B30: 80523D52
	v_mul_lo_u32 v6, v5, s82                                   // 000000006B34: D2850006 0000A505
	v_readlane_b32 s82, v3, 29                                 // 000000006B3C: D2890052 00013B03
	s_lshr_b32 s61, s82, 24                                    // 000000006B44: 8F3D9852
	s_and_b32 s82, s82, 0xffffff                               // 000000006B48: 8652FF52 00FFFFFF
	s_mul_i32 s82, s82, s71                                    // 000000006B50: 92524752
	s_mul_i32 s61, s60, s61                                    // 000000006B54: 923D3D3C
	s_add_u32 s82, s82, s61                                    // 000000006B58: 80523D52
	v_mul_lo_u32 v7, v4, s82                                   // 000000006B5C: D2850007 0000A504
	v_add_u32_e32 v74, v6, v7                                  // 000000006B64: 68940F06
	v_readlane_b32 s82, v3, 30                                 // 000000006B68: D2890052 00013D03
	s_lshr_b32 s61, s82, 24                                    // 000000006B70: 8F3D9852
	s_and_b32 s82, s82, 0xffffff                               // 000000006B74: 8652FF52 00FFFFFF
	s_mul_i32 s82, s82, s71                                    // 000000006B7C: 92524752
	s_mul_i32 s61, s60, s61                                    // 000000006B80: 923D3D3C
	s_add_u32 s82, s82, s61                                    // 000000006B84: 80523D52
	v_mul_lo_u32 v6, v5, s82                                   // 000000006B88: D2850006 0000A505
	v_readlane_b32 s82, v3, 31                                 // 000000006B90: D2890052 00013F03
	s_lshr_b32 s61, s82, 24                                    // 000000006B98: 8F3D9852
	s_and_b32 s82, s82, 0xffffff                               // 000000006B9C: 8652FF52 00FFFFFF
	s_mul_i32 s82, s82, s71                                    // 000000006BA4: 92524752
	s_mul_i32 s61, s60, s61                                    // 000000006BA8: 923D3D3C
	s_add_u32 s82, s82, s61                                    // 000000006BAC: 80523D52
	v_mul_lo_u32 v7, v4, s82                                   // 000000006BB0: D2850007 0000A504
	v_add_u32_e32 v75, v6, v7                                  // 000000006BB8: 68960F06
	v_and_b32_e32 v4, 31, v0                                   // 000000006BBC: 2608009F
	v_lshrrev_b32_e32 v4, 1, v4                                // 000000006BC0: 20080881
	s_cmp_eq_u32 s88, 0                                        // 000000006BC4: BF068058
	s_cselect_b32 s61, 2, 4                                    // 000000006BC8: 853D8482
	v_mul_lo_u32 v4, v4, s61                                   // 000000006BCC: D2850004 00007B04
	v_and_b32_e64 v5, v0, 1                                    // 000000006BD4: D1130005 00010300
	v_add_u32_e32 v4, v4, v5                                   // 000000006BDC: 68080B04
	v_lshlrev_b32_e32 v4, 2, v4                                // 000000006BE0: 24080882
	v_add_u32_e32 v60, v60, v4                                 // 000000006BE4: 6878093C
	v_add_u32_e32 v61, v61, v4                                 // 000000006BE8: 687A093D
	v_add_u32_e32 v62, v62, v4                                 // 000000006BEC: 687C093E
	v_add_u32_e32 v63, v63, v4                                 // 000000006BF0: 687E093F
	v_add_u32_e32 v64, v64, v4                                 // 000000006BF4: 68800940
	v_add_u32_e32 v65, v65, v4                                 // 000000006BF8: 68820941
	v_add_u32_e32 v66, v66, v4                                 // 000000006BFC: 68840942
	v_add_u32_e32 v67, v67, v4                                 // 000000006C00: 68860943
	v_add_u32_e32 v68, v68, v4                                 // 000000006C04: 68880944
	v_add_u32_e32 v69, v69, v4                                 // 000000006C08: 688A0945
	v_add_u32_e32 v70, v70, v4                                 // 000000006C0C: 688C0946
	v_add_u32_e32 v71, v71, v4                                 // 000000006C10: 688E0947
	v_add_u32_e32 v72, v72, v4                                 // 000000006C14: 68900948
	v_add_u32_e32 v73, v73, v4                                 // 000000006C18: 68920949
	v_add_u32_e32 v74, v74, v4                                 // 000000006C1C: 6894094A
	v_add_u32_e32 v75, v75, v4                                 // 000000006C20: 6896094B
	s_waitcnt lgkmcnt(0)                                       // 000000006C24: BF8CC07F
	s_barrier                                                  // 000000006C28: BF8A0000
	ds_read_b32 v80, v21                                       // 000000006C2C: D86C0000 50000015
	ds_read_b32 v81, v21 offset:64                             // 000000006C34: D86C0040 51000015
	ds_read_b32 v82, v21 offset:2176                           // 000000006C3C: D86C0880 52000015
	ds_read_b32 v83, v21 offset:2240                           // 000000006C44: D86C08C0 53000015
	ds_read_b32 v84, v21 offset:4352                           // 000000006C4C: D86C1100 54000015
	ds_read_b32 v85, v21 offset:4416                           // 000000006C54: D86C1140 55000015
	ds_read_b32 v86, v21 offset:6528                           // 000000006C5C: D86C1980 56000015
	ds_read_b32 v87, v21 offset:6592                           // 000000006C64: D86C19C0 57000015
	ds_read_b32 v88, v21 offset:8704                           // 000000006C6C: D86C2200 58000015
	ds_read_b32 v89, v21 offset:8768                           // 000000006C74: D86C2240 59000015
	ds_read_b32 v90, v21 offset:10880                          // 000000006C7C: D86C2A80 5A000015
	ds_read_b32 v91, v21 offset:10944                          // 000000006C84: D86C2AC0 5B000015
	ds_read_b32 v92, v21 offset:13056                          // 000000006C8C: D86C3300 5C000015
	ds_read_b32 v93, v21 offset:13120                          // 000000006C94: D86C3340 5D000015
	ds_read_b32 v94, v21 offset:15232                          // 000000006C9C: D86C3B80 5E000015
	ds_read_b32 v95, v21 offset:15296                          // 000000006CA4: D86C3BC0 5F000015
	ds_read_b32 v96, v21 offset:17408                          // 000000006CAC: D86C4400 60000015
	ds_read_b32 v97, v21 offset:17472                          // 000000006CB4: D86C4440 61000015
	ds_read_b32 v98, v21 offset:19584                          // 000000006CBC: D86C4C80 62000015
	ds_read_b32 v99, v21 offset:19648                          // 000000006CC4: D86C4CC0 63000015
	ds_read_b32 v100, v21 offset:21760                         // 000000006CCC: D86C5500 64000015
	ds_read_b32 v101, v21 offset:21824                         // 000000006CD4: D86C5540 65000015
	ds_read_b32 v102, v21 offset:23936                         // 000000006CDC: D86C5D80 66000015
	ds_read_b32 v103, v21 offset:24000                         // 000000006CE4: D86C5DC0 67000015
	ds_read_b32 v104, v21 offset:26112                         // 000000006CEC: D86C6600 68000015
	ds_read_b32 v105, v21 offset:26176                         // 000000006CF4: D86C6640 69000015
	ds_read_b32 v106, v21 offset:28288                         // 000000006CFC: D86C6E80 6A000015
	ds_read_b32 v107, v21 offset:28352                         // 000000006D04: D86C6EC0 6B000015
	ds_read_b32 v108, v21 offset:30464                         // 000000006D0C: D86C7700 6C000015
	ds_read_b32 v109, v21 offset:30528                         // 000000006D14: D86C7740 6D000015
	ds_read_b32 v110, v21 offset:32640                         // 000000006D1C: D86C7F80 6E000015
	ds_read_b32 v111, v21 offset:32704                         // 000000006D24: D86C7FC0 6F000015
	s_waitcnt lgkmcnt(0)                                       // 000000006D2C: BF8CC07F
	s_mov_b32 s36, -1                                          // 000000006D30: BEA400C1
	s_mov_b32 s37, -1                                          // 000000006D34: BEA500C1
	v_mov_b32_e32 v7, 0                                        // 000000006D38: 7E0E0280
	s_or_b32 s9, s9, 0x40000                                   // 000000006D3C: 8709FF09 00040000
	s_mov_b64 exec, s[36:37]                                   // 000000006D44: BEFE0124
	v_mov_b32_e32 v6, v60                                      // 000000006D48: 7E0C033C
	s_mov_b64 s[60:61], 0                                      // 000000006D4C: BEBC0180
	v_readlane_b32 s82, v3, 0                                  // 000000006D50: D2890052 00010103
	s_and_b32 s82, s82, 0xffffff                               // 000000006D58: 8652FF52 00FFFFFF
	s_cmp_lt_u32 s82, s66                                      // 000000006D60: BF0A4252
	s_cselect_b32 s20, s36, s60                                // 000000006D64: 85143C24
	v_readlane_b32 s82, v3, 1                                  // 000000006D68: D2890052 00010303
	s_and_b32 s82, s82, 0xffffff                               // 000000006D70: 8652FF52 00FFFFFF
	s_cmp_lt_u32 s82, s66                                      // 000000006D78: BF0A4252
	s_cselect_b32 s21, s36, s60                                // 000000006D7C: 85153C24
	s_mov_b64 exec, s[20:21]                                   // 000000006D80: BEFE0114
	buffer_store_dword v80, v6, s[8:11], 0 offen               // 000000006D84: E0701000 80025006
	buffer_store_dword v82, v6, s[8:11], 0 offen offset:128    // 000000006D8C: E0701080 80025206
	s_mov_b64 exec, s[36:37]                                   // 000000006D94: BEFE0124
	v_mov_b32_e32 v6, v61                                      // 000000006D98: 7E0C033D
	s_mov_b64 s[60:61], 0                                      // 000000006D9C: BEBC0180
	v_readlane_b32 s82, v3, 2                                  // 000000006DA0: D2890052 00010503
	s_and_b32 s82, s82, 0xffffff                               // 000000006DA8: 8652FF52 00FFFFFF
	s_cmp_lt_u32 s82, s66                                      // 000000006DB0: BF0A4252
	s_cselect_b32 s20, s36, s60                                // 000000006DB4: 85143C24
	v_readlane_b32 s82, v3, 3                                  // 000000006DB8: D2890052 00010703
	s_and_b32 s82, s82, 0xffffff                               // 000000006DC0: 8652FF52 00FFFFFF
	s_cmp_lt_u32 s82, s66                                      // 000000006DC8: BF0A4252
	s_cselect_b32 s21, s36, s60                                // 000000006DCC: 85153C24
	s_mov_b64 exec, s[20:21]                                   // 000000006DD0: BEFE0114
	buffer_store_dword v81, v6, s[8:11], 0 offen               // 000000006DD4: E0701000 80025106
	buffer_store_dword v83, v6, s[8:11], 0 offen offset:128    // 000000006DDC: E0701080 80025306
	s_mov_b64 exec, s[36:37]                                   // 000000006DE4: BEFE0124
	v_mov_b32_e32 v6, v62                                      // 000000006DE8: 7E0C033E
	s_mov_b64 s[60:61], 0                                      // 000000006DEC: BEBC0180
	v_readlane_b32 s82, v3, 4                                  // 000000006DF0: D2890052 00010903
	s_and_b32 s82, s82, 0xffffff                               // 000000006DF8: 8652FF52 00FFFFFF
	s_cmp_lt_u32 s82, s66                                      // 000000006E00: BF0A4252
	s_cselect_b32 s20, s36, s60                                // 000000006E04: 85143C24
	v_readlane_b32 s82, v3, 5                                  // 000000006E08: D2890052 00010B03
	s_and_b32 s82, s82, 0xffffff                               // 000000006E10: 8652FF52 00FFFFFF
	s_cmp_lt_u32 s82, s66                                      // 000000006E18: BF0A4252
	s_cselect_b32 s21, s36, s60                                // 000000006E1C: 85153C24
	s_mov_b64 exec, s[20:21]                                   // 000000006E20: BEFE0114
	buffer_store_dword v84, v6, s[8:11], 0 offen               // 000000006E24: E0701000 80025406
	buffer_store_dword v86, v6, s[8:11], 0 offen offset:128    // 000000006E2C: E0701080 80025606
	s_mov_b64 exec, s[36:37]                                   // 000000006E34: BEFE0124
	v_mov_b32_e32 v6, v63                                      // 000000006E38: 7E0C033F
	s_mov_b64 s[60:61], 0                                      // 000000006E3C: BEBC0180
	v_readlane_b32 s82, v3, 6                                  // 000000006E40: D2890052 00010D03
	s_and_b32 s82, s82, 0xffffff                               // 000000006E48: 8652FF52 00FFFFFF
	s_cmp_lt_u32 s82, s66                                      // 000000006E50: BF0A4252
	s_cselect_b32 s20, s36, s60                                // 000000006E54: 85143C24
	v_readlane_b32 s82, v3, 7                                  // 000000006E58: D2890052 00010F03
	s_and_b32 s82, s82, 0xffffff                               // 000000006E60: 8652FF52 00FFFFFF
	s_cmp_lt_u32 s82, s66                                      // 000000006E68: BF0A4252
	s_cselect_b32 s21, s36, s60                                // 000000006E6C: 85153C24
	s_mov_b64 exec, s[20:21]                                   // 000000006E70: BEFE0114
	buffer_store_dword v85, v6, s[8:11], 0 offen               // 000000006E74: E0701000 80025506
	buffer_store_dword v87, v6, s[8:11], 0 offen offset:128    // 000000006E7C: E0701080 80025706
	s_mov_b64 exec, s[36:37]                                   // 000000006E84: BEFE0124
	v_mov_b32_e32 v6, v64                                      // 000000006E88: 7E0C0340
	s_mov_b64 s[60:61], 0                                      // 000000006E8C: BEBC0180
	v_readlane_b32 s82, v3, 8                                  // 000000006E90: D2890052 00011103
	s_and_b32 s82, s82, 0xffffff                               // 000000006E98: 8652FF52 00FFFFFF
	s_cmp_lt_u32 s82, s66                                      // 000000006EA0: BF0A4252
	s_cselect_b32 s20, s36, s60                                // 000000006EA4: 85143C24
	v_readlane_b32 s82, v3, 9                                  // 000000006EA8: D2890052 00011303
	s_and_b32 s82, s82, 0xffffff                               // 000000006EB0: 8652FF52 00FFFFFF
	s_cmp_lt_u32 s82, s66                                      // 000000006EB8: BF0A4252
	s_cselect_b32 s21, s36, s60                                // 000000006EBC: 85153C24
	s_mov_b64 exec, s[20:21]                                   // 000000006EC0: BEFE0114
	buffer_store_dword v88, v6, s[8:11], 0 offen               // 000000006EC4: E0701000 80025806
	buffer_store_dword v90, v6, s[8:11], 0 offen offset:128    // 000000006ECC: E0701080 80025A06
	s_mov_b64 exec, s[36:37]                                   // 000000006ED4: BEFE0124
	v_mov_b32_e32 v6, v65                                      // 000000006ED8: 7E0C0341
	s_mov_b64 s[60:61], 0                                      // 000000006EDC: BEBC0180
	v_readlane_b32 s82, v3, 10                                 // 000000006EE0: D2890052 00011503
	s_and_b32 s82, s82, 0xffffff                               // 000000006EE8: 8652FF52 00FFFFFF
	s_cmp_lt_u32 s82, s66                                      // 000000006EF0: BF0A4252
	s_cselect_b32 s20, s36, s60                                // 000000006EF4: 85143C24
	v_readlane_b32 s82, v3, 11                                 // 000000006EF8: D2890052 00011703
	s_and_b32 s82, s82, 0xffffff                               // 000000006F00: 8652FF52 00FFFFFF
	s_cmp_lt_u32 s82, s66                                      // 000000006F08: BF0A4252
	s_cselect_b32 s21, s36, s60                                // 000000006F0C: 85153C24
	s_mov_b64 exec, s[20:21]                                   // 000000006F10: BEFE0114
	buffer_store_dword v89, v6, s[8:11], 0 offen               // 000000006F14: E0701000 80025906
	buffer_store_dword v91, v6, s[8:11], 0 offen offset:128    // 000000006F1C: E0701080 80025B06
	s_mov_b64 exec, s[36:37]                                   // 000000006F24: BEFE0124
	v_mov_b32_e32 v6, v66                                      // 000000006F28: 7E0C0342
	s_mov_b64 s[60:61], 0                                      // 000000006F2C: BEBC0180
	v_readlane_b32 s82, v3, 12                                 // 000000006F30: D2890052 00011903
	s_and_b32 s82, s82, 0xffffff                               // 000000006F38: 8652FF52 00FFFFFF
	s_cmp_lt_u32 s82, s66                                      // 000000006F40: BF0A4252
	s_cselect_b32 s20, s36, s60                                // 000000006F44: 85143C24
	v_readlane_b32 s82, v3, 13                                 // 000000006F48: D2890052 00011B03
	s_and_b32 s82, s82, 0xffffff                               // 000000006F50: 8652FF52 00FFFFFF
	s_cmp_lt_u32 s82, s66                                      // 000000006F58: BF0A4252
	s_cselect_b32 s21, s36, s60                                // 000000006F5C: 85153C24
	s_mov_b64 exec, s[20:21]                                   // 000000006F60: BEFE0114
	buffer_store_dword v92, v6, s[8:11], 0 offen               // 000000006F64: E0701000 80025C06
	buffer_store_dword v94, v6, s[8:11], 0 offen offset:128    // 000000006F6C: E0701080 80025E06
	s_mov_b64 exec, s[36:37]                                   // 000000006F74: BEFE0124
	v_mov_b32_e32 v6, v67                                      // 000000006F78: 7E0C0343
	s_mov_b64 s[60:61], 0                                      // 000000006F7C: BEBC0180
	v_readlane_b32 s82, v3, 14                                 // 000000006F80: D2890052 00011D03
	s_and_b32 s82, s82, 0xffffff                               // 000000006F88: 8652FF52 00FFFFFF
	s_cmp_lt_u32 s82, s66                                      // 000000006F90: BF0A4252
	s_cselect_b32 s20, s36, s60                                // 000000006F94: 85143C24
	v_readlane_b32 s82, v3, 15                                 // 000000006F98: D2890052 00011F03
	s_and_b32 s82, s82, 0xffffff                               // 000000006FA0: 8652FF52 00FFFFFF
	s_cmp_lt_u32 s82, s66                                      // 000000006FA8: BF0A4252
	s_cselect_b32 s21, s36, s60                                // 000000006FAC: 85153C24
	s_mov_b64 exec, s[20:21]                                   // 000000006FB0: BEFE0114
	buffer_store_dword v93, v6, s[8:11], 0 offen               // 000000006FB4: E0701000 80025D06
	buffer_store_dword v95, v6, s[8:11], 0 offen offset:128    // 000000006FBC: E0701080 80025F06
	s_mov_b64 exec, s[36:37]                                   // 000000006FC4: BEFE0124
	v_mov_b32_e32 v6, v68                                      // 000000006FC8: 7E0C0344
	s_mov_b64 s[60:61], 0                                      // 000000006FCC: BEBC0180
	v_readlane_b32 s82, v3, 16                                 // 000000006FD0: D2890052 00012103
	s_and_b32 s82, s82, 0xffffff                               // 000000006FD8: 8652FF52 00FFFFFF
	s_cmp_lt_u32 s82, s66                                      // 000000006FE0: BF0A4252
	s_cselect_b32 s20, s36, s60                                // 000000006FE4: 85143C24
	v_readlane_b32 s82, v3, 17                                 // 000000006FE8: D2890052 00012303
	s_and_b32 s82, s82, 0xffffff                               // 000000006FF0: 8652FF52 00FFFFFF
	s_cmp_lt_u32 s82, s66                                      // 000000006FF8: BF0A4252
	s_cselect_b32 s21, s36, s60                                // 000000006FFC: 85153C24
	s_mov_b64 exec, s[20:21]                                   // 000000007000: BEFE0114
	buffer_store_dword v96, v6, s[8:11], 0 offen               // 000000007004: E0701000 80026006
	buffer_store_dword v98, v6, s[8:11], 0 offen offset:128    // 00000000700C: E0701080 80026206
	s_mov_b64 exec, s[36:37]                                   // 000000007014: BEFE0124
	v_mov_b32_e32 v6, v69                                      // 000000007018: 7E0C0345
	s_mov_b64 s[60:61], 0                                      // 00000000701C: BEBC0180
	v_readlane_b32 s82, v3, 18                                 // 000000007020: D2890052 00012503
	s_and_b32 s82, s82, 0xffffff                               // 000000007028: 8652FF52 00FFFFFF
	s_cmp_lt_u32 s82, s66                                      // 000000007030: BF0A4252
	s_cselect_b32 s20, s36, s60                                // 000000007034: 85143C24
	v_readlane_b32 s82, v3, 19                                 // 000000007038: D2890052 00012703
	s_and_b32 s82, s82, 0xffffff                               // 000000007040: 8652FF52 00FFFFFF
	s_cmp_lt_u32 s82, s66                                      // 000000007048: BF0A4252
	s_cselect_b32 s21, s36, s60                                // 00000000704C: 85153C24
	s_mov_b64 exec, s[20:21]                                   // 000000007050: BEFE0114
	buffer_store_dword v97, v6, s[8:11], 0 offen               // 000000007054: E0701000 80026106
	buffer_store_dword v99, v6, s[8:11], 0 offen offset:128    // 00000000705C: E0701080 80026306
	s_mov_b64 exec, s[36:37]                                   // 000000007064: BEFE0124
	v_mov_b32_e32 v6, v70                                      // 000000007068: 7E0C0346
	s_mov_b64 s[60:61], 0                                      // 00000000706C: BEBC0180
	v_readlane_b32 s82, v3, 20                                 // 000000007070: D2890052 00012903
	s_and_b32 s82, s82, 0xffffff                               // 000000007078: 8652FF52 00FFFFFF
	s_cmp_lt_u32 s82, s66                                      // 000000007080: BF0A4252
	s_cselect_b32 s20, s36, s60                                // 000000007084: 85143C24
	v_readlane_b32 s82, v3, 21                                 // 000000007088: D2890052 00012B03
	s_and_b32 s82, s82, 0xffffff                               // 000000007090: 8652FF52 00FFFFFF
	s_cmp_lt_u32 s82, s66                                      // 000000007098: BF0A4252
	s_cselect_b32 s21, s36, s60                                // 00000000709C: 85153C24
	s_mov_b64 exec, s[20:21]                                   // 0000000070A0: BEFE0114
	buffer_store_dword v100, v6, s[8:11], 0 offen              // 0000000070A4: E0701000 80026406
	buffer_store_dword v102, v6, s[8:11], 0 offen offset:128   // 0000000070AC: E0701080 80026606
	s_mov_b64 exec, s[36:37]                                   // 0000000070B4: BEFE0124
	v_mov_b32_e32 v6, v71                                      // 0000000070B8: 7E0C0347
	s_mov_b64 s[60:61], 0                                      // 0000000070BC: BEBC0180
	v_readlane_b32 s82, v3, 22                                 // 0000000070C0: D2890052 00012D03
	s_and_b32 s82, s82, 0xffffff                               // 0000000070C8: 8652FF52 00FFFFFF
	s_cmp_lt_u32 s82, s66                                      // 0000000070D0: BF0A4252
	s_cselect_b32 s20, s36, s60                                // 0000000070D4: 85143C24
	v_readlane_b32 s82, v3, 23                                 // 0000000070D8: D2890052 00012F03
	s_and_b32 s82, s82, 0xffffff                               // 0000000070E0: 8652FF52 00FFFFFF
	s_cmp_lt_u32 s82, s66                                      // 0000000070E8: BF0A4252
	s_cselect_b32 s21, s36, s60                                // 0000000070EC: 85153C24
	s_mov_b64 exec, s[20:21]                                   // 0000000070F0: BEFE0114
	buffer_store_dword v101, v6, s[8:11], 0 offen              // 0000000070F4: E0701000 80026506
	buffer_store_dword v103, v6, s[8:11], 0 offen offset:128   // 0000000070FC: E0701080 80026706
	s_mov_b64 exec, s[36:37]                                   // 000000007104: BEFE0124
	v_mov_b32_e32 v6, v72                                      // 000000007108: 7E0C0348
	s_mov_b64 s[60:61], 0                                      // 00000000710C: BEBC0180
	v_readlane_b32 s82, v3, 24                                 // 000000007110: D2890052 00013103
	s_and_b32 s82, s82, 0xffffff                               // 000000007118: 8652FF52 00FFFFFF
	s_cmp_lt_u32 s82, s66                                      // 000000007120: BF0A4252
	s_cselect_b32 s20, s36, s60                                // 000000007124: 85143C24
	v_readlane_b32 s82, v3, 25                                 // 000000007128: D2890052 00013303
	s_and_b32 s82, s82, 0xffffff                               // 000000007130: 8652FF52 00FFFFFF
	s_cmp_lt_u32 s82, s66                                      // 000000007138: BF0A4252
	s_cselect_b32 s21, s36, s60                                // 00000000713C: 85153C24
	s_mov_b64 exec, s[20:21]                                   // 000000007140: BEFE0114
	buffer_store_dword v104, v6, s[8:11], 0 offen              // 000000007144: E0701000 80026806
	buffer_store_dword v106, v6, s[8:11], 0 offen offset:128   // 00000000714C: E0701080 80026A06
	s_mov_b64 exec, s[36:37]                                   // 000000007154: BEFE0124
	v_mov_b32_e32 v6, v73                                      // 000000007158: 7E0C0349
	s_mov_b64 s[60:61], 0                                      // 00000000715C: BEBC0180
	v_readlane_b32 s82, v3, 26                                 // 000000007160: D2890052 00013503
	s_and_b32 s82, s82, 0xffffff                               // 000000007168: 8652FF52 00FFFFFF
	s_cmp_lt_u32 s82, s66                                      // 000000007170: BF0A4252
	s_cselect_b32 s20, s36, s60                                // 000000007174: 85143C24
	v_readlane_b32 s82, v3, 27                                 // 000000007178: D2890052 00013703
	s_and_b32 s82, s82, 0xffffff                               // 000000007180: 8652FF52 00FFFFFF
	s_cmp_lt_u32 s82, s66                                      // 000000007188: BF0A4252
	s_cselect_b32 s21, s36, s60                                // 00000000718C: 85153C24
	s_mov_b64 exec, s[20:21]                                   // 000000007190: BEFE0114
	buffer_store_dword v105, v6, s[8:11], 0 offen              // 000000007194: E0701000 80026906
	buffer_store_dword v107, v6, s[8:11], 0 offen offset:128   // 00000000719C: E0701080 80026B06
	s_mov_b64 exec, s[36:37]                                   // 0000000071A4: BEFE0124
	v_mov_b32_e32 v6, v74                                      // 0000000071A8: 7E0C034A
	s_mov_b64 s[60:61], 0                                      // 0000000071AC: BEBC0180
	v_readlane_b32 s82, v3, 28                                 // 0000000071B0: D2890052 00013903
	s_and_b32 s82, s82, 0xffffff                               // 0000000071B8: 8652FF52 00FFFFFF
	s_cmp_lt_u32 s82, s66                                      // 0000000071C0: BF0A4252
	s_cselect_b32 s20, s36, s60                                // 0000000071C4: 85143C24
	v_readlane_b32 s82, v3, 29                                 // 0000000071C8: D2890052 00013B03
	s_and_b32 s82, s82, 0xffffff                               // 0000000071D0: 8652FF52 00FFFFFF
	s_cmp_lt_u32 s82, s66                                      // 0000000071D8: BF0A4252
	s_cselect_b32 s21, s36, s60                                // 0000000071DC: 85153C24
	s_mov_b64 exec, s[20:21]                                   // 0000000071E0: BEFE0114
	buffer_store_dword v108, v6, s[8:11], 0 offen              // 0000000071E4: E0701000 80026C06
	buffer_store_dword v110, v6, s[8:11], 0 offen offset:128   // 0000000071EC: E0701080 80026E06
	s_mov_b64 exec, s[36:37]                                   // 0000000071F4: BEFE0124
	v_mov_b32_e32 v6, v75                                      // 0000000071F8: 7E0C034B
	s_mov_b64 s[60:61], 0                                      // 0000000071FC: BEBC0180
	v_readlane_b32 s82, v3, 30                                 // 000000007200: D2890052 00013D03
	s_and_b32 s82, s82, 0xffffff                               // 000000007208: 8652FF52 00FFFFFF
	s_cmp_lt_u32 s82, s66                                      // 000000007210: BF0A4252
	s_cselect_b32 s20, s36, s60                                // 000000007214: 85143C24
	v_readlane_b32 s82, v3, 31                                 // 000000007218: D2890052 00013F03
	s_and_b32 s82, s82, 0xffffff                               // 000000007220: 8652FF52 00FFFFFF
	s_cmp_lt_u32 s82, s66                                      // 000000007228: BF0A4252
	s_cselect_b32 s21, s36, s60                                // 00000000722C: 85153C24
	s_mov_b64 exec, s[20:21]                                   // 000000007230: BEFE0114
	buffer_store_dword v109, v6, s[8:11], 0 offen              // 000000007234: E0701000 80026D06
	buffer_store_dword v111, v6, s[8:11], 0 offen offset:128   // 00000000723C: E0701080 80026F06
	s_mov_b64 exec, s[36:37]                                   // 000000007244: BEFE0124
	s_branch label_30AE                                        // 000000007248: BF821E98

000000000000724c <label_1213>:
	ds_write_b64 v20, v[80:81]                                 // 00000000724C: D89A0000 00005014
	ds_write_b64 v20, v[84:85] offset:4352                     // 000000007254: D89A1100 00005414
	ds_write_b64 v20, v[88:89] offset:8704                     // 00000000725C: D89A2200 00005814
	ds_write_b64 v20, v[92:93] offset:13056                    // 000000007264: D89A3300 00005C14
	ds_write_b64 v20, v[96:97] offset:17408                    // 00000000726C: D89A4400 00006014
	ds_write_b64 v20, v[100:101] offset:21760                  // 000000007274: D89A5500 00006414
	ds_write_b64 v20, v[104:105] offset:26112                  // 00000000727C: D89A6600 00006814
	ds_write_b64 v20, v[108:109] offset:30464                  // 000000007284: D89A7700 00006C14
	ds_write_b64 v20, v[112:113] offset:2176                   // 00000000728C: D89A0880 00007014
	ds_write_b64 v20, v[116:117] offset:6528                   // 000000007294: D89A1980 00007414
	ds_write_b64 v20, v[120:121] offset:10880                  // 00000000729C: D89A2A80 00007814
	ds_write_b64 v20, v[124:125] offset:15232                  // 0000000072A4: D89A3B80 00007C14
	ds_write_b64 v20, v[128:129] offset:19584                  // 0000000072AC: D89A4C80 00008014
	ds_write_b64 v20, v[132:133] offset:23936                  // 0000000072B4: D89A5D80 00008414
	ds_write_b64 v20, v[136:137] offset:28288                  // 0000000072BC: D89A6E80 00008814
	ds_write_b64 v20, v[140:141] offset:32640                  // 0000000072C4: D89A7F80 00008C14
	v_lshrrev_b32_e32 v4, 5, v0                                // 0000000072CC: 20080085
	v_xor_b32_e32 v5, 1, v4                                    // 0000000072D0: 2A0A0881
	s_mul_i32 s60, s65, 2                                      // 0000000072D4: 923C8241
	s_cmp_eq_u32 s88, 0                                        // 0000000072D8: BF068058
	s_cselect_b32 s61, 1, 4                                    // 0000000072DC: 853D8481
	s_mul_i32 s60, s61, s60                                    // 0000000072E0: 923C3C3D
	v_readlane_b32 s82, v3, 0                                  // 0000000072E4: D2890052 00010103
	s_lshr_b32 s61, s82, 24                                    // 0000000072EC: 8F3D9852
	s_and_b32 s82, s82, 0xffffff                               // 0000000072F0: 8652FF52 00FFFFFF
	s_mul_i32 s82, s82, s71                                    // 0000000072F8: 92524752
	s_mul_i32 s61, s60, s61                                    // 0000000072FC: 923D3D3C
	s_add_u32 s82, s82, s61                                    // 000000007300: 80523D52
	v_mul_lo_u32 v6, v5, s82                                   // 000000007304: D2850006 0000A505
	v_readlane_b32 s82, v3, 1                                  // 00000000730C: D2890052 00010303
	s_lshr_b32 s61, s82, 24                                    // 000000007314: 8F3D9852
	s_and_b32 s82, s82, 0xffffff                               // 000000007318: 8652FF52 00FFFFFF
	s_mul_i32 s82, s82, s71                                    // 000000007320: 92524752
	s_mul_i32 s61, s60, s61                                    // 000000007324: 923D3D3C
	s_add_u32 s82, s82, s61                                    // 000000007328: 80523D52
	v_mul_lo_u32 v7, v4, s82                                   // 00000000732C: D2850007 0000A504
	v_add_u32_e32 v60, v6, v7                                  // 000000007334: 68780F06
	v_readlane_b32 s82, v3, 2                                  // 000000007338: D2890052 00010503
	s_lshr_b32 s61, s82, 24                                    // 000000007340: 8F3D9852
	s_and_b32 s82, s82, 0xffffff                               // 000000007344: 8652FF52 00FFFFFF
	s_mul_i32 s82, s82, s71                                    // 00000000734C: 92524752
	s_mul_i32 s61, s60, s61                                    // 000000007350: 923D3D3C
	s_add_u32 s82, s82, s61                                    // 000000007354: 80523D52
	v_mul_lo_u32 v6, v5, s82                                   // 000000007358: D2850006 0000A505
	v_readlane_b32 s82, v3, 3                                  // 000000007360: D2890052 00010703
	s_lshr_b32 s61, s82, 24                                    // 000000007368: 8F3D9852
	s_and_b32 s82, s82, 0xffffff                               // 00000000736C: 8652FF52 00FFFFFF
	s_mul_i32 s82, s82, s71                                    // 000000007374: 92524752
	s_mul_i32 s61, s60, s61                                    // 000000007378: 923D3D3C
	s_add_u32 s82, s82, s61                                    // 00000000737C: 80523D52
	v_mul_lo_u32 v7, v4, s82                                   // 000000007380: D2850007 0000A504
	v_add_u32_e32 v61, v6, v7                                  // 000000007388: 687A0F06
	v_readlane_b32 s82, v3, 4                                  // 00000000738C: D2890052 00010903
	s_lshr_b32 s61, s82, 24                                    // 000000007394: 8F3D9852
	s_and_b32 s82, s82, 0xffffff                               // 000000007398: 8652FF52 00FFFFFF
	s_mul_i32 s82, s82, s71                                    // 0000000073A0: 92524752
	s_mul_i32 s61, s60, s61                                    // 0000000073A4: 923D3D3C
	s_add_u32 s82, s82, s61                                    // 0000000073A8: 80523D52
	v_mul_lo_u32 v6, v5, s82                                   // 0000000073AC: D2850006 0000A505
	v_readlane_b32 s82, v3, 5                                  // 0000000073B4: D2890052 00010B03
	s_lshr_b32 s61, s82, 24                                    // 0000000073BC: 8F3D9852
	s_and_b32 s82, s82, 0xffffff                               // 0000000073C0: 8652FF52 00FFFFFF
	s_mul_i32 s82, s82, s71                                    // 0000000073C8: 92524752
	s_mul_i32 s61, s60, s61                                    // 0000000073CC: 923D3D3C
	s_add_u32 s82, s82, s61                                    // 0000000073D0: 80523D52
	v_mul_lo_u32 v7, v4, s82                                   // 0000000073D4: D2850007 0000A504
	v_add_u32_e32 v62, v6, v7                                  // 0000000073DC: 687C0F06
	v_readlane_b32 s82, v3, 6                                  // 0000000073E0: D2890052 00010D03
	s_lshr_b32 s61, s82, 24                                    // 0000000073E8: 8F3D9852
	s_and_b32 s82, s82, 0xffffff                               // 0000000073EC: 8652FF52 00FFFFFF
	s_mul_i32 s82, s82, s71                                    // 0000000073F4: 92524752
	s_mul_i32 s61, s60, s61                                    // 0000000073F8: 923D3D3C
	s_add_u32 s82, s82, s61                                    // 0000000073FC: 80523D52
	v_mul_lo_u32 v6, v5, s82                                   // 000000007400: D2850006 0000A505
	v_readlane_b32 s82, v3, 7                                  // 000000007408: D2890052 00010F03
	s_lshr_b32 s61, s82, 24                                    // 000000007410: 8F3D9852
	s_and_b32 s82, s82, 0xffffff                               // 000000007414: 8652FF52 00FFFFFF
	s_mul_i32 s82, s82, s71                                    // 00000000741C: 92524752
	s_mul_i32 s61, s60, s61                                    // 000000007420: 923D3D3C
	s_add_u32 s82, s82, s61                                    // 000000007424: 80523D52
	v_mul_lo_u32 v7, v4, s82                                   // 000000007428: D2850007 0000A504
	v_add_u32_e32 v63, v6, v7                                  // 000000007430: 687E0F06
	v_readlane_b32 s82, v3, 8                                  // 000000007434: D2890052 00011103
	s_lshr_b32 s61, s82, 24                                    // 00000000743C: 8F3D9852
	s_and_b32 s82, s82, 0xffffff                               // 000000007440: 8652FF52 00FFFFFF
	s_mul_i32 s82, s82, s71                                    // 000000007448: 92524752
	s_mul_i32 s61, s60, s61                                    // 00000000744C: 923D3D3C
	s_add_u32 s82, s82, s61                                    // 000000007450: 80523D52
	v_mul_lo_u32 v6, v5, s82                                   // 000000007454: D2850006 0000A505
	v_readlane_b32 s82, v3, 9                                  // 00000000745C: D2890052 00011303
	s_lshr_b32 s61, s82, 24                                    // 000000007464: 8F3D9852
	s_and_b32 s82, s82, 0xffffff                               // 000000007468: 8652FF52 00FFFFFF
	s_mul_i32 s82, s82, s71                                    // 000000007470: 92524752
	s_mul_i32 s61, s60, s61                                    // 000000007474: 923D3D3C
	s_add_u32 s82, s82, s61                                    // 000000007478: 80523D52
	v_mul_lo_u32 v7, v4, s82                                   // 00000000747C: D2850007 0000A504
	v_add_u32_e32 v64, v6, v7                                  // 000000007484: 68800F06
	v_readlane_b32 s82, v3, 10                                 // 000000007488: D2890052 00011503
	s_lshr_b32 s61, s82, 24                                    // 000000007490: 8F3D9852
	s_and_b32 s82, s82, 0xffffff                               // 000000007494: 8652FF52 00FFFFFF
	s_mul_i32 s82, s82, s71                                    // 00000000749C: 92524752
	s_mul_i32 s61, s60, s61                                    // 0000000074A0: 923D3D3C
	s_add_u32 s82, s82, s61                                    // 0000000074A4: 80523D52
	v_mul_lo_u32 v6, v5, s82                                   // 0000000074A8: D2850006 0000A505
	v_readlane_b32 s82, v3, 11                                 // 0000000074B0: D2890052 00011703
	s_lshr_b32 s61, s82, 24                                    // 0000000074B8: 8F3D9852
	s_and_b32 s82, s82, 0xffffff                               // 0000000074BC: 8652FF52 00FFFFFF
	s_mul_i32 s82, s82, s71                                    // 0000000074C4: 92524752
	s_mul_i32 s61, s60, s61                                    // 0000000074C8: 923D3D3C
	s_add_u32 s82, s82, s61                                    // 0000000074CC: 80523D52
	v_mul_lo_u32 v7, v4, s82                                   // 0000000074D0: D2850007 0000A504
	v_add_u32_e32 v65, v6, v7                                  // 0000000074D8: 68820F06
	v_readlane_b32 s82, v3, 12                                 // 0000000074DC: D2890052 00011903
	s_lshr_b32 s61, s82, 24                                    // 0000000074E4: 8F3D9852
	s_and_b32 s82, s82, 0xffffff                               // 0000000074E8: 8652FF52 00FFFFFF
	s_mul_i32 s82, s82, s71                                    // 0000000074F0: 92524752
	s_mul_i32 s61, s60, s61                                    // 0000000074F4: 923D3D3C
	s_add_u32 s82, s82, s61                                    // 0000000074F8: 80523D52
	v_mul_lo_u32 v6, v5, s82                                   // 0000000074FC: D2850006 0000A505
	v_readlane_b32 s82, v3, 13                                 // 000000007504: D2890052 00011B03
	s_lshr_b32 s61, s82, 24                                    // 00000000750C: 8F3D9852
	s_and_b32 s82, s82, 0xffffff                               // 000000007510: 8652FF52 00FFFFFF
	s_mul_i32 s82, s82, s71                                    // 000000007518: 92524752
	s_mul_i32 s61, s60, s61                                    // 00000000751C: 923D3D3C
	s_add_u32 s82, s82, s61                                    // 000000007520: 80523D52
	v_mul_lo_u32 v7, v4, s82                                   // 000000007524: D2850007 0000A504
	v_add_u32_e32 v66, v6, v7                                  // 00000000752C: 68840F06
	v_readlane_b32 s82, v3, 14                                 // 000000007530: D2890052 00011D03
	s_lshr_b32 s61, s82, 24                                    // 000000007538: 8F3D9852
	s_and_b32 s82, s82, 0xffffff                               // 00000000753C: 8652FF52 00FFFFFF
	s_mul_i32 s82, s82, s71                                    // 000000007544: 92524752
	s_mul_i32 s61, s60, s61                                    // 000000007548: 923D3D3C
	s_add_u32 s82, s82, s61                                    // 00000000754C: 80523D52
	v_mul_lo_u32 v6, v5, s82                                   // 000000007550: D2850006 0000A505
	v_readlane_b32 s82, v3, 15                                 // 000000007558: D2890052 00011F03
	s_lshr_b32 s61, s82, 24                                    // 000000007560: 8F3D9852
	s_and_b32 s82, s82, 0xffffff                               // 000000007564: 8652FF52 00FFFFFF
	s_mul_i32 s82, s82, s71                                    // 00000000756C: 92524752
	s_mul_i32 s61, s60, s61                                    // 000000007570: 923D3D3C
	s_add_u32 s82, s82, s61                                    // 000000007574: 80523D52
	v_mul_lo_u32 v7, v4, s82                                   // 000000007578: D2850007 0000A504
	v_add_u32_e32 v67, v6, v7                                  // 000000007580: 68860F06
	v_readlane_b32 s82, v3, 16                                 // 000000007584: D2890052 00012103
	s_lshr_b32 s61, s82, 24                                    // 00000000758C: 8F3D9852
	s_and_b32 s82, s82, 0xffffff                               // 000000007590: 8652FF52 00FFFFFF
	s_mul_i32 s82, s82, s71                                    // 000000007598: 92524752
	s_mul_i32 s61, s60, s61                                    // 00000000759C: 923D3D3C
	s_add_u32 s82, s82, s61                                    // 0000000075A0: 80523D52
	v_mul_lo_u32 v6, v5, s82                                   // 0000000075A4: D2850006 0000A505
	v_readlane_b32 s82, v3, 17                                 // 0000000075AC: D2890052 00012303
	s_lshr_b32 s61, s82, 24                                    // 0000000075B4: 8F3D9852
	s_and_b32 s82, s82, 0xffffff                               // 0000000075B8: 8652FF52 00FFFFFF
	s_mul_i32 s82, s82, s71                                    // 0000000075C0: 92524752
	s_mul_i32 s61, s60, s61                                    // 0000000075C4: 923D3D3C
	s_add_u32 s82, s82, s61                                    // 0000000075C8: 80523D52
	v_mul_lo_u32 v7, v4, s82                                   // 0000000075CC: D2850007 0000A504
	v_add_u32_e32 v68, v6, v7                                  // 0000000075D4: 68880F06
	v_readlane_b32 s82, v3, 18                                 // 0000000075D8: D2890052 00012503
	s_lshr_b32 s61, s82, 24                                    // 0000000075E0: 8F3D9852
	s_and_b32 s82, s82, 0xffffff                               // 0000000075E4: 8652FF52 00FFFFFF
	s_mul_i32 s82, s82, s71                                    // 0000000075EC: 92524752
	s_mul_i32 s61, s60, s61                                    // 0000000075F0: 923D3D3C
	s_add_u32 s82, s82, s61                                    // 0000000075F4: 80523D52
	v_mul_lo_u32 v6, v5, s82                                   // 0000000075F8: D2850006 0000A505
	v_readlane_b32 s82, v3, 19                                 // 000000007600: D2890052 00012703
	s_lshr_b32 s61, s82, 24                                    // 000000007608: 8F3D9852
	s_and_b32 s82, s82, 0xffffff                               // 00000000760C: 8652FF52 00FFFFFF
	s_mul_i32 s82, s82, s71                                    // 000000007614: 92524752
	s_mul_i32 s61, s60, s61                                    // 000000007618: 923D3D3C
	s_add_u32 s82, s82, s61                                    // 00000000761C: 80523D52
	v_mul_lo_u32 v7, v4, s82                                   // 000000007620: D2850007 0000A504
	v_add_u32_e32 v69, v6, v7                                  // 000000007628: 688A0F06
	v_readlane_b32 s82, v3, 20                                 // 00000000762C: D2890052 00012903
	s_lshr_b32 s61, s82, 24                                    // 000000007634: 8F3D9852
	s_and_b32 s82, s82, 0xffffff                               // 000000007638: 8652FF52 00FFFFFF
	s_mul_i32 s82, s82, s71                                    // 000000007640: 92524752
	s_mul_i32 s61, s60, s61                                    // 000000007644: 923D3D3C
	s_add_u32 s82, s82, s61                                    // 000000007648: 80523D52
	v_mul_lo_u32 v6, v5, s82                                   // 00000000764C: D2850006 0000A505
	v_readlane_b32 s82, v3, 21                                 // 000000007654: D2890052 00012B03
	s_lshr_b32 s61, s82, 24                                    // 00000000765C: 8F3D9852
	s_and_b32 s82, s82, 0xffffff                               // 000000007660: 8652FF52 00FFFFFF
	s_mul_i32 s82, s82, s71                                    // 000000007668: 92524752
	s_mul_i32 s61, s60, s61                                    // 00000000766C: 923D3D3C
	s_add_u32 s82, s82, s61                                    // 000000007670: 80523D52
	v_mul_lo_u32 v7, v4, s82                                   // 000000007674: D2850007 0000A504
	v_add_u32_e32 v70, v6, v7                                  // 00000000767C: 688C0F06
	v_readlane_b32 s82, v3, 22                                 // 000000007680: D2890052 00012D03
	s_lshr_b32 s61, s82, 24                                    // 000000007688: 8F3D9852
	s_and_b32 s82, s82, 0xffffff                               // 00000000768C: 8652FF52 00FFFFFF
	s_mul_i32 s82, s82, s71                                    // 000000007694: 92524752
	s_mul_i32 s61, s60, s61                                    // 000000007698: 923D3D3C
	s_add_u32 s82, s82, s61                                    // 00000000769C: 80523D52
	v_mul_lo_u32 v6, v5, s82                                   // 0000000076A0: D2850006 0000A505
	v_readlane_b32 s82, v3, 23                                 // 0000000076A8: D2890052 00012F03
	s_lshr_b32 s61, s82, 24                                    // 0000000076B0: 8F3D9852
	s_and_b32 s82, s82, 0xffffff                               // 0000000076B4: 8652FF52 00FFFFFF
	s_mul_i32 s82, s82, s71                                    // 0000000076BC: 92524752
	s_mul_i32 s61, s60, s61                                    // 0000000076C0: 923D3D3C
	s_add_u32 s82, s82, s61                                    // 0000000076C4: 80523D52
	v_mul_lo_u32 v7, v4, s82                                   // 0000000076C8: D2850007 0000A504
	v_add_u32_e32 v71, v6, v7                                  // 0000000076D0: 688E0F06
	v_readlane_b32 s82, v3, 24                                 // 0000000076D4: D2890052 00013103
	s_lshr_b32 s61, s82, 24                                    // 0000000076DC: 8F3D9852
	s_and_b32 s82, s82, 0xffffff                               // 0000000076E0: 8652FF52 00FFFFFF
	s_mul_i32 s82, s82, s71                                    // 0000000076E8: 92524752
	s_mul_i32 s61, s60, s61                                    // 0000000076EC: 923D3D3C
	s_add_u32 s82, s82, s61                                    // 0000000076F0: 80523D52
	v_mul_lo_u32 v6, v5, s82                                   // 0000000076F4: D2850006 0000A505
	v_readlane_b32 s82, v3, 25                                 // 0000000076FC: D2890052 00013303
	s_lshr_b32 s61, s82, 24                                    // 000000007704: 8F3D9852
	s_and_b32 s82, s82, 0xffffff                               // 000000007708: 8652FF52 00FFFFFF
	s_mul_i32 s82, s82, s71                                    // 000000007710: 92524752
	s_mul_i32 s61, s60, s61                                    // 000000007714: 923D3D3C
	s_add_u32 s82, s82, s61                                    // 000000007718: 80523D52
	v_mul_lo_u32 v7, v4, s82                                   // 00000000771C: D2850007 0000A504
	v_add_u32_e32 v72, v6, v7                                  // 000000007724: 68900F06
	v_readlane_b32 s82, v3, 26                                 // 000000007728: D2890052 00013503
	s_lshr_b32 s61, s82, 24                                    // 000000007730: 8F3D9852
	s_and_b32 s82, s82, 0xffffff                               // 000000007734: 8652FF52 00FFFFFF
	s_mul_i32 s82, s82, s71                                    // 00000000773C: 92524752
	s_mul_i32 s61, s60, s61                                    // 000000007740: 923D3D3C
	s_add_u32 s82, s82, s61                                    // 000000007744: 80523D52
	v_mul_lo_u32 v6, v5, s82                                   // 000000007748: D2850006 0000A505
	v_readlane_b32 s82, v3, 27                                 // 000000007750: D2890052 00013703
	s_lshr_b32 s61, s82, 24                                    // 000000007758: 8F3D9852
	s_and_b32 s82, s82, 0xffffff                               // 00000000775C: 8652FF52 00FFFFFF
	s_mul_i32 s82, s82, s71                                    // 000000007764: 92524752
	s_mul_i32 s61, s60, s61                                    // 000000007768: 923D3D3C
	s_add_u32 s82, s82, s61                                    // 00000000776C: 80523D52
	v_mul_lo_u32 v7, v4, s82                                   // 000000007770: D2850007 0000A504
	v_add_u32_e32 v73, v6, v7                                  // 000000007778: 68920F06
	v_readlane_b32 s82, v3, 28                                 // 00000000777C: D2890052 00013903
	s_lshr_b32 s61, s82, 24                                    // 000000007784: 8F3D9852
	s_and_b32 s82, s82, 0xffffff                               // 000000007788: 8652FF52 00FFFFFF
	s_mul_i32 s82, s82, s71                                    // 000000007790: 92524752
	s_mul_i32 s61, s60, s61                                    // 000000007794: 923D3D3C
	s_add_u32 s82, s82, s61                                    // 000000007798: 80523D52
	v_mul_lo_u32 v6, v5, s82                                   // 00000000779C: D2850006 0000A505
	v_readlane_b32 s82, v3, 29                                 // 0000000077A4: D2890052 00013B03
	s_lshr_b32 s61, s82, 24                                    // 0000000077AC: 8F3D9852
	s_and_b32 s82, s82, 0xffffff                               // 0000000077B0: 8652FF52 00FFFFFF
	s_mul_i32 s82, s82, s71                                    // 0000000077B8: 92524752
	s_mul_i32 s61, s60, s61                                    // 0000000077BC: 923D3D3C
	s_add_u32 s82, s82, s61                                    // 0000000077C0: 80523D52
	v_mul_lo_u32 v7, v4, s82                                   // 0000000077C4: D2850007 0000A504
	v_add_u32_e32 v74, v6, v7                                  // 0000000077CC: 68940F06
	v_readlane_b32 s82, v3, 30                                 // 0000000077D0: D2890052 00013D03
	s_lshr_b32 s61, s82, 24                                    // 0000000077D8: 8F3D9852
	s_and_b32 s82, s82, 0xffffff                               // 0000000077DC: 8652FF52 00FFFFFF
	s_mul_i32 s82, s82, s71                                    // 0000000077E4: 92524752
	s_mul_i32 s61, s60, s61                                    // 0000000077E8: 923D3D3C
	s_add_u32 s82, s82, s61                                    // 0000000077EC: 80523D52
	v_mul_lo_u32 v6, v5, s82                                   // 0000000077F0: D2850006 0000A505
	v_readlane_b32 s82, v3, 31                                 // 0000000077F8: D2890052 00013F03
	s_lshr_b32 s61, s82, 24                                    // 000000007800: 8F3D9852
	s_and_b32 s82, s82, 0xffffff                               // 000000007804: 8652FF52 00FFFFFF
	s_mul_i32 s82, s82, s71                                    // 00000000780C: 92524752
	s_mul_i32 s61, s60, s61                                    // 000000007810: 923D3D3C
	s_add_u32 s82, s82, s61                                    // 000000007814: 80523D52
	v_mul_lo_u32 v7, v4, s82                                   // 000000007818: D2850007 0000A504
	v_add_u32_e32 v75, v6, v7                                  // 000000007820: 68960F06
	v_and_b32_e32 v4, 31, v0                                   // 000000007824: 2608009F
	v_lshrrev_b32_e32 v4, 1, v4                                // 000000007828: 20080881
	s_cmp_eq_u32 s88, 0                                        // 00000000782C: BF068058
	s_cselect_b32 s61, 2, 4                                    // 000000007830: 853D8482
	v_mul_lo_u32 v4, v4, s61                                   // 000000007834: D2850004 00007B04
	v_and_b32_e64 v5, v0, 1                                    // 00000000783C: D1130005 00010300
	v_add_u32_e32 v4, v4, v5                                   // 000000007844: 68080B04
	v_lshlrev_b32_e32 v4, 2, v4                                // 000000007848: 24080882
	v_add_u32_e32 v60, v60, v4                                 // 00000000784C: 6878093C
	v_add_u32_e32 v61, v61, v4                                 // 000000007850: 687A093D
	v_add_u32_e32 v62, v62, v4                                 // 000000007854: 687C093E
	v_add_u32_e32 v63, v63, v4                                 // 000000007858: 687E093F
	v_add_u32_e32 v64, v64, v4                                 // 00000000785C: 68800940
	v_add_u32_e32 v65, v65, v4                                 // 000000007860: 68820941
	v_add_u32_e32 v66, v66, v4                                 // 000000007864: 68840942
	;; [unrolled: 1-line block ×3, first 2 shown]
	v_add_u32_e32 v68, v68, v4                                 // 00000000786C: 68880944
	v_add_u32_e32 v69, v69, v4                                 // 000000007870: 688A0945
	v_add_u32_e32 v70, v70, v4                                 // 000000007874: 688C0946
	v_add_u32_e32 v71, v71, v4                                 // 000000007878: 688E0947
	v_add_u32_e32 v72, v72, v4                                 // 00000000787C: 68900948
	v_add_u32_e32 v73, v73, v4                                 // 000000007880: 68920949
	v_add_u32_e32 v74, v74, v4                                 // 000000007884: 6894094A
	v_add_u32_e32 v75, v75, v4                                 // 000000007888: 6896094B
	s_waitcnt lgkmcnt(0)                                       // 00000000788C: BF8CC07F
	s_barrier                                                  // 000000007890: BF8A0000
	ds_read_b32 v80, v21                                       // 000000007894: D86C0000 50000015
	ds_read_b32 v81, v21 offset:64                             // 00000000789C: D86C0040 51000015
	ds_read_b32 v84, v21 offset:2176                           // 0000000078A4: D86C0880 54000015
	ds_read_b32 v85, v21 offset:2240                           // 0000000078AC: D86C08C0 55000015
	ds_read_b32 v88, v21 offset:4352                           // 0000000078B4: D86C1100 58000015
	ds_read_b32 v89, v21 offset:4416                           // 0000000078BC: D86C1140 59000015
	ds_read_b32 v92, v21 offset:6528                           // 0000000078C4: D86C1980 5C000015
	ds_read_b32 v93, v21 offset:6592                           // 0000000078CC: D86C19C0 5D000015
	ds_read_b32 v96, v21 offset:8704                           // 0000000078D4: D86C2200 60000015
	ds_read_b32 v97, v21 offset:8768                           // 0000000078DC: D86C2240 61000015
	ds_read_b32 v100, v21 offset:10880                         // 0000000078E4: D86C2A80 64000015
	ds_read_b32 v101, v21 offset:10944                         // 0000000078EC: D86C2AC0 65000015
	ds_read_b32 v104, v21 offset:13056                         // 0000000078F4: D86C3300 68000015
	ds_read_b32 v105, v21 offset:13120                         // 0000000078FC: D86C3340 69000015
	ds_read_b32 v108, v21 offset:15232                         // 000000007904: D86C3B80 6C000015
	ds_read_b32 v109, v21 offset:15296                         // 00000000790C: D86C3BC0 6D000015
	ds_read_b32 v112, v21 offset:17408                         // 000000007914: D86C4400 70000015
	ds_read_b32 v113, v21 offset:17472                         // 00000000791C: D86C4440 71000015
	ds_read_b32 v116, v21 offset:19584                         // 000000007924: D86C4C80 74000015
	ds_read_b32 v117, v21 offset:19648                         // 00000000792C: D86C4CC0 75000015
	ds_read_b32 v120, v21 offset:21760                         // 000000007934: D86C5500 78000015
	ds_read_b32 v121, v21 offset:21824                         // 00000000793C: D86C5540 79000015
	ds_read_b32 v124, v21 offset:23936                         // 000000007944: D86C5D80 7C000015
	ds_read_b32 v125, v21 offset:24000                         // 00000000794C: D86C5DC0 7D000015
	ds_read_b32 v128, v21 offset:26112                         // 000000007954: D86C6600 80000015
	ds_read_b32 v129, v21 offset:26176                         // 00000000795C: D86C6640 81000015
	ds_read_b32 v132, v21 offset:28288                         // 000000007964: D86C6E80 84000015
	ds_read_b32 v133, v21 offset:28352                         // 00000000796C: D86C6EC0 85000015
	ds_read_b32 v136, v21 offset:30464                         // 000000007974: D86C7700 88000015
	ds_read_b32 v137, v21 offset:30528                         // 00000000797C: D86C7740 89000015
	ds_read_b32 v140, v21 offset:32640                         // 000000007984: D86C7F80 8C000015
	ds_read_b32 v141, v21 offset:32704                         // 00000000798C: D86C7FC0 8D000015
	s_waitcnt lgkmcnt(0)                                       // 000000007994: BF8CC07F
	s_mov_b32 s36, -1                                          // 000000007998: BEA400C1
	s_mov_b32 s37, -1                                          // 00000000799C: BEA500C1
	v_mov_b32_e32 v7, 0                                        // 0000000079A0: 7E0E0280
	s_mov_b64 exec, s[36:37]                                   // 0000000079A4: BEFE0124
	v_mov_b32_e32 v6, v60                                      // 0000000079A8: 7E0C033C
	s_mov_b64 s[60:61], 0                                      // 0000000079AC: BEBC0180
	v_readlane_b32 s82, v3, 0                                  // 0000000079B0: D2890052 00010103
	s_and_b32 s82, s82, 0xffffff                               // 0000000079B8: 8652FF52 00FFFFFF
	s_cmp_lt_u32 s82, s66                                      // 0000000079C0: BF0A4252
	s_cselect_b32 s20, s36, s60                                // 0000000079C4: 85143C24
	v_readlane_b32 s82, v3, 1                                  // 0000000079C8: D2890052 00010303
	s_and_b32 s82, s82, 0xffffff                               // 0000000079D0: 8652FF52 00FFFFFF
	s_cmp_lt_u32 s82, s66                                      // 0000000079D8: BF0A4252
	s_cselect_b32 s21, s36, s60                                // 0000000079DC: 85153C24
	s_mov_b64 exec, s[20:21]                                   // 0000000079E0: BEFE0114
	global_atomic_add_f32 v6, v80, s[8:9]                      // 0000000079E4: DD348000 00085006
	global_atomic_add_f32 v6, v84, s[8:9] offset:256           // 0000000079EC: DD348100 00085406
	s_mov_b64 exec, s[36:37]                                   // 0000000079F4: BEFE0124
	v_mov_b32_e32 v6, v61                                      // 0000000079F8: 7E0C033D
	s_mov_b64 s[60:61], 0                                      // 0000000079FC: BEBC0180
	v_readlane_b32 s82, v3, 2                                  // 000000007A00: D2890052 00010503
	s_and_b32 s82, s82, 0xffffff                               // 000000007A08: 8652FF52 00FFFFFF
	s_cmp_lt_u32 s82, s66                                      // 000000007A10: BF0A4252
	s_cselect_b32 s20, s36, s60                                // 000000007A14: 85143C24
	v_readlane_b32 s82, v3, 3                                  // 000000007A18: D2890052 00010703
	s_and_b32 s82, s82, 0xffffff                               // 000000007A20: 8652FF52 00FFFFFF
	s_cmp_lt_u32 s82, s66                                      // 000000007A28: BF0A4252
	s_cselect_b32 s21, s36, s60                                // 000000007A2C: 85153C24
	s_mov_b64 exec, s[20:21]                                   // 000000007A30: BEFE0114
	global_atomic_add_f32 v6, v81, s[8:9]                      // 000000007A34: DD348000 00085106
	global_atomic_add_f32 v6, v85, s[8:9] offset:256           // 000000007A3C: DD348100 00085506
	s_mov_b64 exec, s[36:37]                                   // 000000007A44: BEFE0124
	v_mov_b32_e32 v6, v62                                      // 000000007A48: 7E0C033E
	s_mov_b64 s[60:61], 0                                      // 000000007A4C: BEBC0180
	v_readlane_b32 s82, v3, 4                                  // 000000007A50: D2890052 00010903
	s_and_b32 s82, s82, 0xffffff                               // 000000007A58: 8652FF52 00FFFFFF
	s_cmp_lt_u32 s82, s66                                      // 000000007A60: BF0A4252
	s_cselect_b32 s20, s36, s60                                // 000000007A64: 85143C24
	v_readlane_b32 s82, v3, 5                                  // 000000007A68: D2890052 00010B03
	s_and_b32 s82, s82, 0xffffff                               // 000000007A70: 8652FF52 00FFFFFF
	s_cmp_lt_u32 s82, s66                                      // 000000007A78: BF0A4252
	s_cselect_b32 s21, s36, s60                                // 000000007A7C: 85153C24
	s_mov_b64 exec, s[20:21]                                   // 000000007A80: BEFE0114
	global_atomic_add_f32 v6, v88, s[8:9]                      // 000000007A84: DD348000 00085806
	global_atomic_add_f32 v6, v92, s[8:9] offset:256           // 000000007A8C: DD348100 00085C06
	s_mov_b64 exec, s[36:37]                                   // 000000007A94: BEFE0124
	v_mov_b32_e32 v6, v63                                      // 000000007A98: 7E0C033F
	s_mov_b64 s[60:61], 0                                      // 000000007A9C: BEBC0180
	v_readlane_b32 s82, v3, 6                                  // 000000007AA0: D2890052 00010D03
	s_and_b32 s82, s82, 0xffffff                               // 000000007AA8: 8652FF52 00FFFFFF
	s_cmp_lt_u32 s82, s66                                      // 000000007AB0: BF0A4252
	s_cselect_b32 s20, s36, s60                                // 000000007AB4: 85143C24
	v_readlane_b32 s82, v3, 7                                  // 000000007AB8: D2890052 00010F03
	s_and_b32 s82, s82, 0xffffff                               // 000000007AC0: 8652FF52 00FFFFFF
	s_cmp_lt_u32 s82, s66                                      // 000000007AC8: BF0A4252
	s_cselect_b32 s21, s36, s60                                // 000000007ACC: 85153C24
	s_mov_b64 exec, s[20:21]                                   // 000000007AD0: BEFE0114
	global_atomic_add_f32 v6, v89, s[8:9]                      // 000000007AD4: DD348000 00085906
	global_atomic_add_f32 v6, v93, s[8:9] offset:256           // 000000007ADC: DD348100 00085D06
	s_mov_b64 exec, s[36:37]                                   // 000000007AE4: BEFE0124
	v_mov_b32_e32 v6, v64                                      // 000000007AE8: 7E0C0340
	s_mov_b64 s[60:61], 0                                      // 000000007AEC: BEBC0180
	v_readlane_b32 s82, v3, 8                                  // 000000007AF0: D2890052 00011103
	s_and_b32 s82, s82, 0xffffff                               // 000000007AF8: 8652FF52 00FFFFFF
	s_cmp_lt_u32 s82, s66                                      // 000000007B00: BF0A4252
	s_cselect_b32 s20, s36, s60                                // 000000007B04: 85143C24
	v_readlane_b32 s82, v3, 9                                  // 000000007B08: D2890052 00011303
	s_and_b32 s82, s82, 0xffffff                               // 000000007B10: 8652FF52 00FFFFFF
	s_cmp_lt_u32 s82, s66                                      // 000000007B18: BF0A4252
	s_cselect_b32 s21, s36, s60                                // 000000007B1C: 85153C24
	s_mov_b64 exec, s[20:21]                                   // 000000007B20: BEFE0114
	global_atomic_add_f32 v6, v96, s[8:9]                      // 000000007B24: DD348000 00086006
	global_atomic_add_f32 v6, v100, s[8:9] offset:256          // 000000007B2C: DD348100 00086406
	s_mov_b64 exec, s[36:37]                                   // 000000007B34: BEFE0124
	v_mov_b32_e32 v6, v65                                      // 000000007B38: 7E0C0341
	s_mov_b64 s[60:61], 0                                      // 000000007B3C: BEBC0180
	v_readlane_b32 s82, v3, 10                                 // 000000007B40: D2890052 00011503
	s_and_b32 s82, s82, 0xffffff                               // 000000007B48: 8652FF52 00FFFFFF
	s_cmp_lt_u32 s82, s66                                      // 000000007B50: BF0A4252
	s_cselect_b32 s20, s36, s60                                // 000000007B54: 85143C24
	v_readlane_b32 s82, v3, 11                                 // 000000007B58: D2890052 00011703
	s_and_b32 s82, s82, 0xffffff                               // 000000007B60: 8652FF52 00FFFFFF
	s_cmp_lt_u32 s82, s66                                      // 000000007B68: BF0A4252
	s_cselect_b32 s21, s36, s60                                // 000000007B6C: 85153C24
	s_mov_b64 exec, s[20:21]                                   // 000000007B70: BEFE0114
	global_atomic_add_f32 v6, v97, s[8:9]                      // 000000007B74: DD348000 00086106
	global_atomic_add_f32 v6, v101, s[8:9] offset:256          // 000000007B7C: DD348100 00086506
	s_mov_b64 exec, s[36:37]                                   // 000000007B84: BEFE0124
	v_mov_b32_e32 v6, v66                                      // 000000007B88: 7E0C0342
	s_mov_b64 s[60:61], 0                                      // 000000007B8C: BEBC0180
	v_readlane_b32 s82, v3, 12                                 // 000000007B90: D2890052 00011903
	s_and_b32 s82, s82, 0xffffff                               // 000000007B98: 8652FF52 00FFFFFF
	s_cmp_lt_u32 s82, s66                                      // 000000007BA0: BF0A4252
	s_cselect_b32 s20, s36, s60                                // 000000007BA4: 85143C24
	v_readlane_b32 s82, v3, 13                                 // 000000007BA8: D2890052 00011B03
	s_and_b32 s82, s82, 0xffffff                               // 000000007BB0: 8652FF52 00FFFFFF
	s_cmp_lt_u32 s82, s66                                      // 000000007BB8: BF0A4252
	s_cselect_b32 s21, s36, s60                                // 000000007BBC: 85153C24
	s_mov_b64 exec, s[20:21]                                   // 000000007BC0: BEFE0114
	global_atomic_add_f32 v6, v104, s[8:9]                     // 000000007BC4: DD348000 00086806
	global_atomic_add_f32 v6, v108, s[8:9] offset:256          // 000000007BCC: DD348100 00086C06
	s_mov_b64 exec, s[36:37]                                   // 000000007BD4: BEFE0124
	v_mov_b32_e32 v6, v67                                      // 000000007BD8: 7E0C0343
	s_mov_b64 s[60:61], 0                                      // 000000007BDC: BEBC0180
	v_readlane_b32 s82, v3, 14                                 // 000000007BE0: D2890052 00011D03
	s_and_b32 s82, s82, 0xffffff                               // 000000007BE8: 8652FF52 00FFFFFF
	s_cmp_lt_u32 s82, s66                                      // 000000007BF0: BF0A4252
	s_cselect_b32 s20, s36, s60                                // 000000007BF4: 85143C24
	v_readlane_b32 s82, v3, 15                                 // 000000007BF8: D2890052 00011F03
	s_and_b32 s82, s82, 0xffffff                               // 000000007C00: 8652FF52 00FFFFFF
	s_cmp_lt_u32 s82, s66                                      // 000000007C08: BF0A4252
	s_cselect_b32 s21, s36, s60                                // 000000007C0C: 85153C24
	s_mov_b64 exec, s[20:21]                                   // 000000007C10: BEFE0114
	global_atomic_add_f32 v6, v105, s[8:9]                     // 000000007C14: DD348000 00086906
	global_atomic_add_f32 v6, v109, s[8:9] offset:256          // 000000007C1C: DD348100 00086D06
	s_mov_b64 exec, s[36:37]                                   // 000000007C24: BEFE0124
	v_mov_b32_e32 v6, v68                                      // 000000007C28: 7E0C0344
	s_mov_b64 s[60:61], 0                                      // 000000007C2C: BEBC0180
	v_readlane_b32 s82, v3, 16                                 // 000000007C30: D2890052 00012103
	s_and_b32 s82, s82, 0xffffff                               // 000000007C38: 8652FF52 00FFFFFF
	s_cmp_lt_u32 s82, s66                                      // 000000007C40: BF0A4252
	s_cselect_b32 s20, s36, s60                                // 000000007C44: 85143C24
	v_readlane_b32 s82, v3, 17                                 // 000000007C48: D2890052 00012303
	s_and_b32 s82, s82, 0xffffff                               // 000000007C50: 8652FF52 00FFFFFF
	s_cmp_lt_u32 s82, s66                                      // 000000007C58: BF0A4252
	s_cselect_b32 s21, s36, s60                                // 000000007C5C: 85153C24
	s_mov_b64 exec, s[20:21]                                   // 000000007C60: BEFE0114
	global_atomic_add_f32 v6, v112, s[8:9]                     // 000000007C64: DD348000 00087006
	global_atomic_add_f32 v6, v116, s[8:9] offset:256          // 000000007C6C: DD348100 00087406
	s_mov_b64 exec, s[36:37]                                   // 000000007C74: BEFE0124
	v_mov_b32_e32 v6, v69                                      // 000000007C78: 7E0C0345
	s_mov_b64 s[60:61], 0                                      // 000000007C7C: BEBC0180
	v_readlane_b32 s82, v3, 18                                 // 000000007C80: D2890052 00012503
	s_and_b32 s82, s82, 0xffffff                               // 000000007C88: 8652FF52 00FFFFFF
	s_cmp_lt_u32 s82, s66                                      // 000000007C90: BF0A4252
	s_cselect_b32 s20, s36, s60                                // 000000007C94: 85143C24
	v_readlane_b32 s82, v3, 19                                 // 000000007C98: D2890052 00012703
	s_and_b32 s82, s82, 0xffffff                               // 000000007CA0: 8652FF52 00FFFFFF
	s_cmp_lt_u32 s82, s66                                      // 000000007CA8: BF0A4252
	s_cselect_b32 s21, s36, s60                                // 000000007CAC: 85153C24
	s_mov_b64 exec, s[20:21]                                   // 000000007CB0: BEFE0114
	global_atomic_add_f32 v6, v113, s[8:9]                     // 000000007CB4: DD348000 00087106
	global_atomic_add_f32 v6, v117, s[8:9] offset:256          // 000000007CBC: DD348100 00087506
	s_mov_b64 exec, s[36:37]                                   // 000000007CC4: BEFE0124
	v_mov_b32_e32 v6, v70                                      // 000000007CC8: 7E0C0346
	s_mov_b64 s[60:61], 0                                      // 000000007CCC: BEBC0180
	v_readlane_b32 s82, v3, 20                                 // 000000007CD0: D2890052 00012903
	s_and_b32 s82, s82, 0xffffff                               // 000000007CD8: 8652FF52 00FFFFFF
	s_cmp_lt_u32 s82, s66                                      // 000000007CE0: BF0A4252
	s_cselect_b32 s20, s36, s60                                // 000000007CE4: 85143C24
	v_readlane_b32 s82, v3, 21                                 // 000000007CE8: D2890052 00012B03
	s_and_b32 s82, s82, 0xffffff                               // 000000007CF0: 8652FF52 00FFFFFF
	s_cmp_lt_u32 s82, s66                                      // 000000007CF8: BF0A4252
	s_cselect_b32 s21, s36, s60                                // 000000007CFC: 85153C24
	s_mov_b64 exec, s[20:21]                                   // 000000007D00: BEFE0114
	global_atomic_add_f32 v6, v120, s[8:9]                     // 000000007D04: DD348000 00087806
	global_atomic_add_f32 v6, v124, s[8:9] offset:256          // 000000007D0C: DD348100 00087C06
	s_mov_b64 exec, s[36:37]                                   // 000000007D14: BEFE0124
	v_mov_b32_e32 v6, v71                                      // 000000007D18: 7E0C0347
	s_mov_b64 s[60:61], 0                                      // 000000007D1C: BEBC0180
	v_readlane_b32 s82, v3, 22                                 // 000000007D20: D2890052 00012D03
	s_and_b32 s82, s82, 0xffffff                               // 000000007D28: 8652FF52 00FFFFFF
	s_cmp_lt_u32 s82, s66                                      // 000000007D30: BF0A4252
	s_cselect_b32 s20, s36, s60                                // 000000007D34: 85143C24
	v_readlane_b32 s82, v3, 23                                 // 000000007D38: D2890052 00012F03
	s_and_b32 s82, s82, 0xffffff                               // 000000007D40: 8652FF52 00FFFFFF
	s_cmp_lt_u32 s82, s66                                      // 000000007D48: BF0A4252
	s_cselect_b32 s21, s36, s60                                // 000000007D4C: 85153C24
	s_mov_b64 exec, s[20:21]                                   // 000000007D50: BEFE0114
	global_atomic_add_f32 v6, v121, s[8:9]                     // 000000007D54: DD348000 00087906
	global_atomic_add_f32 v6, v125, s[8:9] offset:256          // 000000007D5C: DD348100 00087D06
	s_mov_b64 exec, s[36:37]                                   // 000000007D64: BEFE0124
	v_mov_b32_e32 v6, v72                                      // 000000007D68: 7E0C0348
	s_mov_b64 s[60:61], 0                                      // 000000007D6C: BEBC0180
	v_readlane_b32 s82, v3, 24                                 // 000000007D70: D2890052 00013103
	s_and_b32 s82, s82, 0xffffff                               // 000000007D78: 8652FF52 00FFFFFF
	s_cmp_lt_u32 s82, s66                                      // 000000007D80: BF0A4252
	s_cselect_b32 s20, s36, s60                                // 000000007D84: 85143C24
	v_readlane_b32 s82, v3, 25                                 // 000000007D88: D2890052 00013303
	s_and_b32 s82, s82, 0xffffff                               // 000000007D90: 8652FF52 00FFFFFF
	s_cmp_lt_u32 s82, s66                                      // 000000007D98: BF0A4252
	s_cselect_b32 s21, s36, s60                                // 000000007D9C: 85153C24
	s_mov_b64 exec, s[20:21]                                   // 000000007DA0: BEFE0114
	global_atomic_add_f32 v6, v128, s[8:9]                     // 000000007DA4: DD348000 00088006
	global_atomic_add_f32 v6, v132, s[8:9] offset:256          // 000000007DAC: DD348100 00088406
	s_mov_b64 exec, s[36:37]                                   // 000000007DB4: BEFE0124
	v_mov_b32_e32 v6, v73                                      // 000000007DB8: 7E0C0349
	s_mov_b64 s[60:61], 0                                      // 000000007DBC: BEBC0180
	v_readlane_b32 s82, v3, 26                                 // 000000007DC0: D2890052 00013503
	s_and_b32 s82, s82, 0xffffff                               // 000000007DC8: 8652FF52 00FFFFFF
	s_cmp_lt_u32 s82, s66                                      // 000000007DD0: BF0A4252
	s_cselect_b32 s20, s36, s60                                // 000000007DD4: 85143C24
	v_readlane_b32 s82, v3, 27                                 // 000000007DD8: D2890052 00013703
	s_and_b32 s82, s82, 0xffffff                               // 000000007DE0: 8652FF52 00FFFFFF
	s_cmp_lt_u32 s82, s66                                      // 000000007DE8: BF0A4252
	s_cselect_b32 s21, s36, s60                                // 000000007DEC: 85153C24
	s_mov_b64 exec, s[20:21]                                   // 000000007DF0: BEFE0114
	global_atomic_add_f32 v6, v129, s[8:9]                     // 000000007DF4: DD348000 00088106
	global_atomic_add_f32 v6, v133, s[8:9] offset:256          // 000000007DFC: DD348100 00088506
	s_mov_b64 exec, s[36:37]                                   // 000000007E04: BEFE0124
	v_mov_b32_e32 v6, v74                                      // 000000007E08: 7E0C034A
	s_mov_b64 s[60:61], 0                                      // 000000007E0C: BEBC0180
	v_readlane_b32 s82, v3, 28                                 // 000000007E10: D2890052 00013903
	s_and_b32 s82, s82, 0xffffff                               // 000000007E18: 8652FF52 00FFFFFF
	s_cmp_lt_u32 s82, s66                                      // 000000007E20: BF0A4252
	s_cselect_b32 s20, s36, s60                                // 000000007E24: 85143C24
	v_readlane_b32 s82, v3, 29                                 // 000000007E28: D2890052 00013B03
	s_and_b32 s82, s82, 0xffffff                               // 000000007E30: 8652FF52 00FFFFFF
	s_cmp_lt_u32 s82, s66                                      // 000000007E38: BF0A4252
	s_cselect_b32 s21, s36, s60                                // 000000007E3C: 85153C24
	s_mov_b64 exec, s[20:21]                                   // 000000007E40: BEFE0114
	global_atomic_add_f32 v6, v136, s[8:9]                     // 000000007E44: DD348000 00088806
	global_atomic_add_f32 v6, v140, s[8:9] offset:256          // 000000007E4C: DD348100 00088C06
	s_mov_b64 exec, s[36:37]                                   // 000000007E54: BEFE0124
	v_mov_b32_e32 v6, v75                                      // 000000007E58: 7E0C034B
	s_mov_b64 s[60:61], 0                                      // 000000007E5C: BEBC0180
	v_readlane_b32 s82, v3, 30                                 // 000000007E60: D2890052 00013D03
	s_and_b32 s82, s82, 0xffffff                               // 000000007E68: 8652FF52 00FFFFFF
	s_cmp_lt_u32 s82, s66                                      // 000000007E70: BF0A4252
	s_cselect_b32 s20, s36, s60                                // 000000007E74: 85143C24
	v_readlane_b32 s82, v3, 31                                 // 000000007E78: D2890052 00013F03
	s_and_b32 s82, s82, 0xffffff                               // 000000007E80: 8652FF52 00FFFFFF
	s_cmp_lt_u32 s82, s66                                      // 000000007E88: BF0A4252
	s_cselect_b32 s21, s36, s60                                // 000000007E8C: 85153C24
	s_mov_b64 exec, s[20:21]                                   // 000000007E90: BEFE0114
	global_atomic_add_f32 v6, v137, s[8:9]                     // 000000007E94: DD348000 00088906
	global_atomic_add_f32 v6, v141, s[8:9] offset:256          // 000000007E9C: DD348100 00088D06
	s_mov_b64 exec, s[36:37]                                   // 000000007EA4: BEFE0124
	ds_write_b64 v20, v[82:83]                                 // 000000007EA8: D89A0000 00005214
	ds_write_b64 v20, v[86:87] offset:4352                     // 000000007EB0: D89A1100 00005614
	ds_write_b64 v20, v[90:91] offset:8704                     // 000000007EB8: D89A2200 00005A14
	ds_write_b64 v20, v[94:95] offset:13056                    // 000000007EC0: D89A3300 00005E14
	ds_write_b64 v20, v[98:99] offset:17408                    // 000000007EC8: D89A4400 00006214
	ds_write_b64 v20, v[102:103] offset:21760                  // 000000007ED0: D89A5500 00006614
	ds_write_b64 v20, v[106:107] offset:26112                  // 000000007ED8: D89A6600 00006A14
	ds_write_b64 v20, v[110:111] offset:30464                  // 000000007EE0: D89A7700 00006E14
	ds_write_b64 v20, v[114:115] offset:2176                   // 000000007EE8: D89A0880 00007214
	ds_write_b64 v20, v[118:119] offset:6528                   // 000000007EF0: D89A1980 00007614
	ds_write_b64 v20, v[122:123] offset:10880                  // 000000007EF8: D89A2A80 00007A14
	ds_write_b64 v20, v[126:127] offset:15232                  // 000000007F00: D89A3B80 00007E14
	ds_write_b64 v20, v[130:131] offset:19584                  // 000000007F08: D89A4C80 00008214
	ds_write_b64 v20, v[134:135] offset:23936                  // 000000007F10: D89A5D80 00008614
	ds_write_b64 v20, v[138:139] offset:28288                  // 000000007F18: D89A6E80 00008A14
	ds_write_b64 v20, v[142:143] offset:32640                  // 000000007F20: D89A7F80 00008E14
	s_waitcnt lgkmcnt(0)                                       // 000000007F28: BF8CC07F
	s_barrier                                                  // 000000007F2C: BF8A0000
	ds_read_b32 v82, v21                                       // 000000007F30: D86C0000 52000015
	ds_read_b32 v83, v21 offset:64                             // 000000007F38: D86C0040 53000015
	ds_read_b32 v86, v21 offset:2176                           // 000000007F40: D86C0880 56000015
	ds_read_b32 v87, v21 offset:2240                           // 000000007F48: D86C08C0 57000015
	ds_read_b32 v90, v21 offset:4352                           // 000000007F50: D86C1100 5A000015
	ds_read_b32 v91, v21 offset:4416                           // 000000007F58: D86C1140 5B000015
	ds_read_b32 v94, v21 offset:6528                           // 000000007F60: D86C1980 5E000015
	ds_read_b32 v95, v21 offset:6592                           // 000000007F68: D86C19C0 5F000015
	ds_read_b32 v98, v21 offset:8704                           // 000000007F70: D86C2200 62000015
	ds_read_b32 v99, v21 offset:8768                           // 000000007F78: D86C2240 63000015
	ds_read_b32 v102, v21 offset:10880                         // 000000007F80: D86C2A80 66000015
	ds_read_b32 v103, v21 offset:10944                         // 000000007F88: D86C2AC0 67000015
	ds_read_b32 v106, v21 offset:13056                         // 000000007F90: D86C3300 6A000015
	ds_read_b32 v107, v21 offset:13120                         // 000000007F98: D86C3340 6B000015
	ds_read_b32 v110, v21 offset:15232                         // 000000007FA0: D86C3B80 6E000015
	ds_read_b32 v111, v21 offset:15296                         // 000000007FA8: D86C3BC0 6F000015
	ds_read_b32 v114, v21 offset:17408                         // 000000007FB0: D86C4400 72000015
	ds_read_b32 v115, v21 offset:17472                         // 000000007FB8: D86C4440 73000015
	ds_read_b32 v118, v21 offset:19584                         // 000000007FC0: D86C4C80 76000015
	ds_read_b32 v119, v21 offset:19648                         // 000000007FC8: D86C4CC0 77000015
	ds_read_b32 v122, v21 offset:21760                         // 000000007FD0: D86C5500 7A000015
	ds_read_b32 v123, v21 offset:21824                         // 000000007FD8: D86C5540 7B000015
	ds_read_b32 v126, v21 offset:23936                         // 000000007FE0: D86C5D80 7E000015
	ds_read_b32 v127, v21 offset:24000                         // 000000007FE8: D86C5DC0 7F000015
	ds_read_b32 v130, v21 offset:26112                         // 000000007FF0: D86C6600 82000015
	ds_read_b32 v131, v21 offset:26176                         // 000000007FF8: D86C6640 83000015
	ds_read_b32 v134, v21 offset:28288                         // 000000008000: D86C6E80 86000015
	ds_read_b32 v135, v21 offset:28352                         // 000000008008: D86C6EC0 87000015
	ds_read_b32 v138, v21 offset:30464                         // 000000008010: D86C7700 8A000015
	ds_read_b32 v139, v21 offset:30528                         // 000000008018: D86C7740 8B000015
	ds_read_b32 v142, v21 offset:32640                         // 000000008020: D86C7F80 8E000015
	ds_read_b32 v143, v21 offset:32704                         // 000000008028: D86C7FC0 8F000015
	s_waitcnt lgkmcnt(0)                                       // 000000008030: BF8CC07F
	v_mov_b32_e32 v7, 0                                        // 000000008034: 7E0E0280
	s_mov_b64 exec, s[36:37]                                   // 000000008038: BEFE0124
	v_mov_b32_e32 v6, v60                                      // 00000000803C: 7E0C033C
	s_mov_b64 s[60:61], 0                                      // 000000008040: BEBC0180
	v_readlane_b32 s82, v3, 0                                  // 000000008044: D2890052 00010103
	s_and_b32 s82, s82, 0xffffff                               // 00000000804C: 8652FF52 00FFFFFF
	s_cmp_lt_u32 s82, s66                                      // 000000008054: BF0A4252
	s_cselect_b32 s20, s36, s60                                // 000000008058: 85143C24
	v_readlane_b32 s82, v3, 1                                  // 00000000805C: D2890052 00010303
	s_and_b32 s82, s82, 0xffffff                               // 000000008064: 8652FF52 00FFFFFF
	s_cmp_lt_u32 s82, s66                                      // 00000000806C: BF0A4252
	s_cselect_b32 s21, s36, s60                                // 000000008070: 85153C24
	s_mov_b64 exec, s[20:21]                                   // 000000008074: BEFE0114
	global_atomic_add_f32 v6, v82, s[8:9] offset:8             // 000000008078: DD348008 00085206
	global_atomic_add_f32 v6, v86, s[8:9] offset:264           // 000000008080: DD348108 00085606
	s_mov_b64 exec, s[36:37]                                   // 000000008088: BEFE0124
	v_mov_b32_e32 v6, v61                                      // 00000000808C: 7E0C033D
	s_mov_b64 s[60:61], 0                                      // 000000008090: BEBC0180
	v_readlane_b32 s82, v3, 2                                  // 000000008094: D2890052 00010503
	s_and_b32 s82, s82, 0xffffff                               // 00000000809C: 8652FF52 00FFFFFF
	s_cmp_lt_u32 s82, s66                                      // 0000000080A4: BF0A4252
	s_cselect_b32 s20, s36, s60                                // 0000000080A8: 85143C24
	v_readlane_b32 s82, v3, 3                                  // 0000000080AC: D2890052 00010703
	s_and_b32 s82, s82, 0xffffff                               // 0000000080B4: 8652FF52 00FFFFFF
	s_cmp_lt_u32 s82, s66                                      // 0000000080BC: BF0A4252
	s_cselect_b32 s21, s36, s60                                // 0000000080C0: 85153C24
	s_mov_b64 exec, s[20:21]                                   // 0000000080C4: BEFE0114
	global_atomic_add_f32 v6, v83, s[8:9] offset:8             // 0000000080C8: DD348008 00085306
	global_atomic_add_f32 v6, v87, s[8:9] offset:264           // 0000000080D0: DD348108 00085706
	s_mov_b64 exec, s[36:37]                                   // 0000000080D8: BEFE0124
	v_mov_b32_e32 v6, v62                                      // 0000000080DC: 7E0C033E
	s_mov_b64 s[60:61], 0                                      // 0000000080E0: BEBC0180
	v_readlane_b32 s82, v3, 4                                  // 0000000080E4: D2890052 00010903
	s_and_b32 s82, s82, 0xffffff                               // 0000000080EC: 8652FF52 00FFFFFF
	s_cmp_lt_u32 s82, s66                                      // 0000000080F4: BF0A4252
	s_cselect_b32 s20, s36, s60                                // 0000000080F8: 85143C24
	v_readlane_b32 s82, v3, 5                                  // 0000000080FC: D2890052 00010B03
	s_and_b32 s82, s82, 0xffffff                               // 000000008104: 8652FF52 00FFFFFF
	s_cmp_lt_u32 s82, s66                                      // 00000000810C: BF0A4252
	s_cselect_b32 s21, s36, s60                                // 000000008110: 85153C24
	s_mov_b64 exec, s[20:21]                                   // 000000008114: BEFE0114
	global_atomic_add_f32 v6, v90, s[8:9] offset:8             // 000000008118: DD348008 00085A06
	global_atomic_add_f32 v6, v94, s[8:9] offset:264           // 000000008120: DD348108 00085E06
	s_mov_b64 exec, s[36:37]                                   // 000000008128: BEFE0124
	v_mov_b32_e32 v6, v63                                      // 00000000812C: 7E0C033F
	s_mov_b64 s[60:61], 0                                      // 000000008130: BEBC0180
	v_readlane_b32 s82, v3, 6                                  // 000000008134: D2890052 00010D03
	s_and_b32 s82, s82, 0xffffff                               // 00000000813C: 8652FF52 00FFFFFF
	s_cmp_lt_u32 s82, s66                                      // 000000008144: BF0A4252
	s_cselect_b32 s20, s36, s60                                // 000000008148: 85143C24
	v_readlane_b32 s82, v3, 7                                  // 00000000814C: D2890052 00010F03
	s_and_b32 s82, s82, 0xffffff                               // 000000008154: 8652FF52 00FFFFFF
	s_cmp_lt_u32 s82, s66                                      // 00000000815C: BF0A4252
	s_cselect_b32 s21, s36, s60                                // 000000008160: 85153C24
	s_mov_b64 exec, s[20:21]                                   // 000000008164: BEFE0114
	global_atomic_add_f32 v6, v91, s[8:9] offset:8             // 000000008168: DD348008 00085B06
	global_atomic_add_f32 v6, v95, s[8:9] offset:264           // 000000008170: DD348108 00085F06
	s_mov_b64 exec, s[36:37]                                   // 000000008178: BEFE0124
	v_mov_b32_e32 v6, v64                                      // 00000000817C: 7E0C0340
	s_mov_b64 s[60:61], 0                                      // 000000008180: BEBC0180
	v_readlane_b32 s82, v3, 8                                  // 000000008184: D2890052 00011103
	s_and_b32 s82, s82, 0xffffff                               // 00000000818C: 8652FF52 00FFFFFF
	s_cmp_lt_u32 s82, s66                                      // 000000008194: BF0A4252
	s_cselect_b32 s20, s36, s60                                // 000000008198: 85143C24
	v_readlane_b32 s82, v3, 9                                  // 00000000819C: D2890052 00011303
	s_and_b32 s82, s82, 0xffffff                               // 0000000081A4: 8652FF52 00FFFFFF
	s_cmp_lt_u32 s82, s66                                      // 0000000081AC: BF0A4252
	s_cselect_b32 s21, s36, s60                                // 0000000081B0: 85153C24
	s_mov_b64 exec, s[20:21]                                   // 0000000081B4: BEFE0114
	global_atomic_add_f32 v6, v98, s[8:9] offset:8             // 0000000081B8: DD348008 00086206
	global_atomic_add_f32 v6, v102, s[8:9] offset:264          // 0000000081C0: DD348108 00086606
	s_mov_b64 exec, s[36:37]                                   // 0000000081C8: BEFE0124
	v_mov_b32_e32 v6, v65                                      // 0000000081CC: 7E0C0341
	s_mov_b64 s[60:61], 0                                      // 0000000081D0: BEBC0180
	v_readlane_b32 s82, v3, 10                                 // 0000000081D4: D2890052 00011503
	s_and_b32 s82, s82, 0xffffff                               // 0000000081DC: 8652FF52 00FFFFFF
	s_cmp_lt_u32 s82, s66                                      // 0000000081E4: BF0A4252
	s_cselect_b32 s20, s36, s60                                // 0000000081E8: 85143C24
	v_readlane_b32 s82, v3, 11                                 // 0000000081EC: D2890052 00011703
	s_and_b32 s82, s82, 0xffffff                               // 0000000081F4: 8652FF52 00FFFFFF
	s_cmp_lt_u32 s82, s66                                      // 0000000081FC: BF0A4252
	s_cselect_b32 s21, s36, s60                                // 000000008200: 85153C24
	s_mov_b64 exec, s[20:21]                                   // 000000008204: BEFE0114
	global_atomic_add_f32 v6, v99, s[8:9] offset:8             // 000000008208: DD348008 00086306
	global_atomic_add_f32 v6, v103, s[8:9] offset:264          // 000000008210: DD348108 00086706
	s_mov_b64 exec, s[36:37]                                   // 000000008218: BEFE0124
	v_mov_b32_e32 v6, v66                                      // 00000000821C: 7E0C0342
	s_mov_b64 s[60:61], 0                                      // 000000008220: BEBC0180
	v_readlane_b32 s82, v3, 12                                 // 000000008224: D2890052 00011903
	s_and_b32 s82, s82, 0xffffff                               // 00000000822C: 8652FF52 00FFFFFF
	s_cmp_lt_u32 s82, s66                                      // 000000008234: BF0A4252
	s_cselect_b32 s20, s36, s60                                // 000000008238: 85143C24
	v_readlane_b32 s82, v3, 13                                 // 00000000823C: D2890052 00011B03
	s_and_b32 s82, s82, 0xffffff                               // 000000008244: 8652FF52 00FFFFFF
	s_cmp_lt_u32 s82, s66                                      // 00000000824C: BF0A4252
	s_cselect_b32 s21, s36, s60                                // 000000008250: 85153C24
	s_mov_b64 exec, s[20:21]                                   // 000000008254: BEFE0114
	global_atomic_add_f32 v6, v106, s[8:9] offset:8            // 000000008258: DD348008 00086A06
	global_atomic_add_f32 v6, v110, s[8:9] offset:264          // 000000008260: DD348108 00086E06
	s_mov_b64 exec, s[36:37]                                   // 000000008268: BEFE0124
	v_mov_b32_e32 v6, v67                                      // 00000000826C: 7E0C0343
	s_mov_b64 s[60:61], 0                                      // 000000008270: BEBC0180
	v_readlane_b32 s82, v3, 14                                 // 000000008274: D2890052 00011D03
	s_and_b32 s82, s82, 0xffffff                               // 00000000827C: 8652FF52 00FFFFFF
	s_cmp_lt_u32 s82, s66                                      // 000000008284: BF0A4252
	s_cselect_b32 s20, s36, s60                                // 000000008288: 85143C24
	v_readlane_b32 s82, v3, 15                                 // 00000000828C: D2890052 00011F03
	s_and_b32 s82, s82, 0xffffff                               // 000000008294: 8652FF52 00FFFFFF
	s_cmp_lt_u32 s82, s66                                      // 00000000829C: BF0A4252
	s_cselect_b32 s21, s36, s60                                // 0000000082A0: 85153C24
	s_mov_b64 exec, s[20:21]                                   // 0000000082A4: BEFE0114
	global_atomic_add_f32 v6, v107, s[8:9] offset:8            // 0000000082A8: DD348008 00086B06
	global_atomic_add_f32 v6, v111, s[8:9] offset:264          // 0000000082B0: DD348108 00086F06
	s_mov_b64 exec, s[36:37]                                   // 0000000082B8: BEFE0124
	v_mov_b32_e32 v6, v68                                      // 0000000082BC: 7E0C0344
	s_mov_b64 s[60:61], 0                                      // 0000000082C0: BEBC0180
	v_readlane_b32 s82, v3, 16                                 // 0000000082C4: D2890052 00012103
	s_and_b32 s82, s82, 0xffffff                               // 0000000082CC: 8652FF52 00FFFFFF
	s_cmp_lt_u32 s82, s66                                      // 0000000082D4: BF0A4252
	s_cselect_b32 s20, s36, s60                                // 0000000082D8: 85143C24
	v_readlane_b32 s82, v3, 17                                 // 0000000082DC: D2890052 00012303
	s_and_b32 s82, s82, 0xffffff                               // 0000000082E4: 8652FF52 00FFFFFF
	s_cmp_lt_u32 s82, s66                                      // 0000000082EC: BF0A4252
	s_cselect_b32 s21, s36, s60                                // 0000000082F0: 85153C24
	s_mov_b64 exec, s[20:21]                                   // 0000000082F4: BEFE0114
	global_atomic_add_f32 v6, v114, s[8:9] offset:8            // 0000000082F8: DD348008 00087206
	global_atomic_add_f32 v6, v118, s[8:9] offset:264          // 000000008300: DD348108 00087606
	s_mov_b64 exec, s[36:37]                                   // 000000008308: BEFE0124
	v_mov_b32_e32 v6, v69                                      // 00000000830C: 7E0C0345
	s_mov_b64 s[60:61], 0                                      // 000000008310: BEBC0180
	v_readlane_b32 s82, v3, 18                                 // 000000008314: D2890052 00012503
	s_and_b32 s82, s82, 0xffffff                               // 00000000831C: 8652FF52 00FFFFFF
	s_cmp_lt_u32 s82, s66                                      // 000000008324: BF0A4252
	s_cselect_b32 s20, s36, s60                                // 000000008328: 85143C24
	v_readlane_b32 s82, v3, 19                                 // 00000000832C: D2890052 00012703
	s_and_b32 s82, s82, 0xffffff                               // 000000008334: 8652FF52 00FFFFFF
	s_cmp_lt_u32 s82, s66                                      // 00000000833C: BF0A4252
	s_cselect_b32 s21, s36, s60                                // 000000008340: 85153C24
	s_mov_b64 exec, s[20:21]                                   // 000000008344: BEFE0114
	global_atomic_add_f32 v6, v115, s[8:9] offset:8            // 000000008348: DD348008 00087306
	global_atomic_add_f32 v6, v119, s[8:9] offset:264          // 000000008350: DD348108 00087706
	s_mov_b64 exec, s[36:37]                                   // 000000008358: BEFE0124
	v_mov_b32_e32 v6, v70                                      // 00000000835C: 7E0C0346
	s_mov_b64 s[60:61], 0                                      // 000000008360: BEBC0180
	v_readlane_b32 s82, v3, 20                                 // 000000008364: D2890052 00012903
	s_and_b32 s82, s82, 0xffffff                               // 00000000836C: 8652FF52 00FFFFFF
	s_cmp_lt_u32 s82, s66                                      // 000000008374: BF0A4252
	s_cselect_b32 s20, s36, s60                                // 000000008378: 85143C24
	v_readlane_b32 s82, v3, 21                                 // 00000000837C: D2890052 00012B03
	s_and_b32 s82, s82, 0xffffff                               // 000000008384: 8652FF52 00FFFFFF
	s_cmp_lt_u32 s82, s66                                      // 00000000838C: BF0A4252
	s_cselect_b32 s21, s36, s60                                // 000000008390: 85153C24
	s_mov_b64 exec, s[20:21]                                   // 000000008394: BEFE0114
	global_atomic_add_f32 v6, v122, s[8:9] offset:8            // 000000008398: DD348008 00087A06
	global_atomic_add_f32 v6, v126, s[8:9] offset:264          // 0000000083A0: DD348108 00087E06
	s_mov_b64 exec, s[36:37]                                   // 0000000083A8: BEFE0124
	v_mov_b32_e32 v6, v71                                      // 0000000083AC: 7E0C0347
	s_mov_b64 s[60:61], 0                                      // 0000000083B0: BEBC0180
	v_readlane_b32 s82, v3, 22                                 // 0000000083B4: D2890052 00012D03
	s_and_b32 s82, s82, 0xffffff                               // 0000000083BC: 8652FF52 00FFFFFF
	s_cmp_lt_u32 s82, s66                                      // 0000000083C4: BF0A4252
	s_cselect_b32 s20, s36, s60                                // 0000000083C8: 85143C24
	v_readlane_b32 s82, v3, 23                                 // 0000000083CC: D2890052 00012F03
	s_and_b32 s82, s82, 0xffffff                               // 0000000083D4: 8652FF52 00FFFFFF
	s_cmp_lt_u32 s82, s66                                      // 0000000083DC: BF0A4252
	s_cselect_b32 s21, s36, s60                                // 0000000083E0: 85153C24
	s_mov_b64 exec, s[20:21]                                   // 0000000083E4: BEFE0114
	global_atomic_add_f32 v6, v123, s[8:9] offset:8            // 0000000083E8: DD348008 00087B06
	global_atomic_add_f32 v6, v127, s[8:9] offset:264          // 0000000083F0: DD348108 00087F06
	s_mov_b64 exec, s[36:37]                                   // 0000000083F8: BEFE0124
	v_mov_b32_e32 v6, v72                                      // 0000000083FC: 7E0C0348
	s_mov_b64 s[60:61], 0                                      // 000000008400: BEBC0180
	v_readlane_b32 s82, v3, 24                                 // 000000008404: D2890052 00013103
	s_and_b32 s82, s82, 0xffffff                               // 00000000840C: 8652FF52 00FFFFFF
	s_cmp_lt_u32 s82, s66                                      // 000000008414: BF0A4252
	s_cselect_b32 s20, s36, s60                                // 000000008418: 85143C24
	v_readlane_b32 s82, v3, 25                                 // 00000000841C: D2890052 00013303
	s_and_b32 s82, s82, 0xffffff                               // 000000008424: 8652FF52 00FFFFFF
	s_cmp_lt_u32 s82, s66                                      // 00000000842C: BF0A4252
	s_cselect_b32 s21, s36, s60                                // 000000008430: 85153C24
	s_mov_b64 exec, s[20:21]                                   // 000000008434: BEFE0114
	global_atomic_add_f32 v6, v130, s[8:9] offset:8            // 000000008438: DD348008 00088206
	global_atomic_add_f32 v6, v134, s[8:9] offset:264          // 000000008440: DD348108 00088606
	s_mov_b64 exec, s[36:37]                                   // 000000008448: BEFE0124
	v_mov_b32_e32 v6, v73                                      // 00000000844C: 7E0C0349
	s_mov_b64 s[60:61], 0                                      // 000000008450: BEBC0180
	v_readlane_b32 s82, v3, 26                                 // 000000008454: D2890052 00013503
	s_and_b32 s82, s82, 0xffffff                               // 00000000845C: 8652FF52 00FFFFFF
	s_cmp_lt_u32 s82, s66                                      // 000000008464: BF0A4252
	s_cselect_b32 s20, s36, s60                                // 000000008468: 85143C24
	v_readlane_b32 s82, v3, 27                                 // 00000000846C: D2890052 00013703
	s_and_b32 s82, s82, 0xffffff                               // 000000008474: 8652FF52 00FFFFFF
	s_cmp_lt_u32 s82, s66                                      // 00000000847C: BF0A4252
	s_cselect_b32 s21, s36, s60                                // 000000008480: 85153C24
	s_mov_b64 exec, s[20:21]                                   // 000000008484: BEFE0114
	global_atomic_add_f32 v6, v131, s[8:9] offset:8            // 000000008488: DD348008 00088306
	global_atomic_add_f32 v6, v135, s[8:9] offset:264          // 000000008490: DD348108 00088706
	s_mov_b64 exec, s[36:37]                                   // 000000008498: BEFE0124
	v_mov_b32_e32 v6, v74                                      // 00000000849C: 7E0C034A
	s_mov_b64 s[60:61], 0                                      // 0000000084A0: BEBC0180
	v_readlane_b32 s82, v3, 28                                 // 0000000084A4: D2890052 00013903
	s_and_b32 s82, s82, 0xffffff                               // 0000000084AC: 8652FF52 00FFFFFF
	s_cmp_lt_u32 s82, s66                                      // 0000000084B4: BF0A4252
	s_cselect_b32 s20, s36, s60                                // 0000000084B8: 85143C24
	v_readlane_b32 s82, v3, 29                                 // 0000000084BC: D2890052 00013B03
	s_and_b32 s82, s82, 0xffffff                               // 0000000084C4: 8652FF52 00FFFFFF
	s_cmp_lt_u32 s82, s66                                      // 0000000084CC: BF0A4252
	s_cselect_b32 s21, s36, s60                                // 0000000084D0: 85153C24
	s_mov_b64 exec, s[20:21]                                   // 0000000084D4: BEFE0114
	global_atomic_add_f32 v6, v138, s[8:9] offset:8            // 0000000084D8: DD348008 00088A06
	global_atomic_add_f32 v6, v142, s[8:9] offset:264          // 0000000084E0: DD348108 00088E06
	s_mov_b64 exec, s[36:37]                                   // 0000000084E8: BEFE0124
	v_mov_b32_e32 v6, v75                                      // 0000000084EC: 7E0C034B
	s_mov_b64 s[60:61], 0                                      // 0000000084F0: BEBC0180
	v_readlane_b32 s82, v3, 30                                 // 0000000084F4: D2890052 00013D03
	s_and_b32 s82, s82, 0xffffff                               // 0000000084FC: 8652FF52 00FFFFFF
	s_cmp_lt_u32 s82, s66                                      // 000000008504: BF0A4252
	s_cselect_b32 s20, s36, s60                                // 000000008508: 85143C24
	v_readlane_b32 s82, v3, 31                                 // 00000000850C: D2890052 00013F03
	s_and_b32 s82, s82, 0xffffff                               // 000000008514: 8652FF52 00FFFFFF
	s_cmp_lt_u32 s82, s66                                      // 00000000851C: BF0A4252
	s_cselect_b32 s21, s36, s60                                // 000000008520: 85153C24
	s_mov_b64 exec, s[20:21]                                   // 000000008524: BEFE0114
	global_atomic_add_f32 v6, v139, s[8:9] offset:8            // 000000008528: DD348008 00088B06
	global_atomic_add_f32 v6, v143, s[8:9] offset:264          // 000000008530: DD348108 00088F06
	s_mov_b64 exec, s[36:37]                                   // 000000008538: BEFE0124
	ds_write_b64 v20, v[144:145]                               // 00000000853C: D89A0000 00009014
	ds_write_b64 v20, v[148:149] offset:4352                   // 000000008544: D89A1100 00009414
	ds_write_b64 v20, v[152:153] offset:8704                   // 00000000854C: D89A2200 00009814
	ds_write_b64 v20, v[156:157] offset:13056                  // 000000008554: D89A3300 00009C14
	ds_write_b64 v20, v[160:161] offset:17408                  // 00000000855C: D89A4400 0000A014
	ds_write_b64 v20, v[164:165] offset:21760                  // 000000008564: D89A5500 0000A414
	ds_write_b64 v20, v[168:169] offset:26112                  // 00000000856C: D89A6600 0000A814
	ds_write_b64 v20, v[172:173] offset:30464                  // 000000008574: D89A7700 0000AC14
	ds_write_b64 v20, v[176:177] offset:2176                   // 00000000857C: D89A0880 0000B014
	ds_write_b64 v20, v[180:181] offset:6528                   // 000000008584: D89A1980 0000B414
	ds_write_b64 v20, v[184:185] offset:10880                  // 00000000858C: D89A2A80 0000B814
	ds_write_b64 v20, v[188:189] offset:15232                  // 000000008594: D89A3B80 0000BC14
	ds_write_b64 v20, v[192:193] offset:19584                  // 00000000859C: D89A4C80 0000C014
	ds_write_b64 v20, v[196:197] offset:23936                  // 0000000085A4: D89A5D80 0000C414
	ds_write_b64 v20, v[200:201] offset:28288                  // 0000000085AC: D89A6E80 0000C814
	ds_write_b64 v20, v[204:205] offset:32640                  // 0000000085B4: D89A7F80 0000CC14
	s_waitcnt lgkmcnt(0)                                       // 0000000085BC: BF8CC07F
	s_barrier                                                  // 0000000085C0: BF8A0000
	ds_read_b32 v144, v21                                      // 0000000085C4: D86C0000 90000015
	ds_read_b32 v145, v21 offset:64                            // 0000000085CC: D86C0040 91000015
	ds_read_b32 v148, v21 offset:2176                          // 0000000085D4: D86C0880 94000015
	ds_read_b32 v149, v21 offset:2240                          // 0000000085DC: D86C08C0 95000015
	ds_read_b32 v152, v21 offset:4352                          // 0000000085E4: D86C1100 98000015
	ds_read_b32 v153, v21 offset:4416                          // 0000000085EC: D86C1140 99000015
	ds_read_b32 v156, v21 offset:6528                          // 0000000085F4: D86C1980 9C000015
	ds_read_b32 v157, v21 offset:6592                          // 0000000085FC: D86C19C0 9D000015
	ds_read_b32 v160, v21 offset:8704                          // 000000008604: D86C2200 A0000015
	ds_read_b32 v161, v21 offset:8768                          // 00000000860C: D86C2240 A1000015
	ds_read_b32 v164, v21 offset:10880                         // 000000008614: D86C2A80 A4000015
	ds_read_b32 v165, v21 offset:10944                         // 00000000861C: D86C2AC0 A5000015
	ds_read_b32 v168, v21 offset:13056                         // 000000008624: D86C3300 A8000015
	ds_read_b32 v169, v21 offset:13120                         // 00000000862C: D86C3340 A9000015
	ds_read_b32 v172, v21 offset:15232                         // 000000008634: D86C3B80 AC000015
	ds_read_b32 v173, v21 offset:15296                         // 00000000863C: D86C3BC0 AD000015
	ds_read_b32 v176, v21 offset:17408                         // 000000008644: D86C4400 B0000015
	ds_read_b32 v177, v21 offset:17472                         // 00000000864C: D86C4440 B1000015
	ds_read_b32 v180, v21 offset:19584                         // 000000008654: D86C4C80 B4000015
	ds_read_b32 v181, v21 offset:19648                         // 00000000865C: D86C4CC0 B5000015
	ds_read_b32 v184, v21 offset:21760                         // 000000008664: D86C5500 B8000015
	ds_read_b32 v185, v21 offset:21824                         // 00000000866C: D86C5540 B9000015
	ds_read_b32 v188, v21 offset:23936                         // 000000008674: D86C5D80 BC000015
	ds_read_b32 v189, v21 offset:24000                         // 00000000867C: D86C5DC0 BD000015
	ds_read_b32 v192, v21 offset:26112                         // 000000008684: D86C6600 C0000015
	ds_read_b32 v193, v21 offset:26176                         // 00000000868C: D86C6640 C1000015
	ds_read_b32 v196, v21 offset:28288                         // 000000008694: D86C6E80 C4000015
	ds_read_b32 v197, v21 offset:28352                         // 00000000869C: D86C6EC0 C5000015
	ds_read_b32 v200, v21 offset:30464                         // 0000000086A4: D86C7700 C8000015
	ds_read_b32 v201, v21 offset:30528                         // 0000000086AC: D86C7740 C9000015
	ds_read_b32 v204, v21 offset:32640                         // 0000000086B4: D86C7F80 CC000015
	ds_read_b32 v205, v21 offset:32704                         // 0000000086BC: D86C7FC0 CD000015
	s_mul_i32 s60, s65, 4                                      // 0000000086C4: 923C8441
	s_add_u32 s8, s60, s8                                      // 0000000086C8: 8008083C
	s_addc_u32 s9, 0, s9                                       // 0000000086CC: 82090980
	s_waitcnt lgkmcnt(0)                                       // 0000000086D0: BF8CC07F
	v_mov_b32_e32 v7, 0                                        // 0000000086D4: 7E0E0280
	s_mov_b64 exec, s[36:37]                                   // 0000000086D8: BEFE0124
	v_mov_b32_e32 v6, v60                                      // 0000000086DC: 7E0C033C
	s_mov_b64 s[60:61], 0                                      // 0000000086E0: BEBC0180
	v_readlane_b32 s82, v3, 0                                  // 0000000086E4: D2890052 00010103
	s_and_b32 s82, s82, 0xffffff                               // 0000000086EC: 8652FF52 00FFFFFF
	s_cmp_lt_u32 s82, s66                                      // 0000000086F4: BF0A4252
	s_cselect_b32 s20, s36, s60                                // 0000000086F8: 85143C24
	v_readlane_b32 s82, v3, 1                                  // 0000000086FC: D2890052 00010303
	s_and_b32 s82, s82, 0xffffff                               // 000000008704: 8652FF52 00FFFFFF
	s_cmp_lt_u32 s82, s66                                      // 00000000870C: BF0A4252
	s_cselect_b32 s21, s36, s60                                // 000000008710: 85153C24
	s_mov_b64 exec, s[20:21]                                   // 000000008714: BEFE0114
	global_atomic_add_f32 v6, v144, s[8:9]                     // 000000008718: DD348000 00089006
	global_atomic_add_f32 v6, v148, s[8:9] offset:256          // 000000008720: DD348100 00089406
	s_mov_b64 exec, s[36:37]                                   // 000000008728: BEFE0124
	v_mov_b32_e32 v6, v61                                      // 00000000872C: 7E0C033D
	s_mov_b64 s[60:61], 0                                      // 000000008730: BEBC0180
	v_readlane_b32 s82, v3, 2                                  // 000000008734: D2890052 00010503
	s_and_b32 s82, s82, 0xffffff                               // 00000000873C: 8652FF52 00FFFFFF
	s_cmp_lt_u32 s82, s66                                      // 000000008744: BF0A4252
	s_cselect_b32 s20, s36, s60                                // 000000008748: 85143C24
	v_readlane_b32 s82, v3, 3                                  // 00000000874C: D2890052 00010703
	s_and_b32 s82, s82, 0xffffff                               // 000000008754: 8652FF52 00FFFFFF
	s_cmp_lt_u32 s82, s66                                      // 00000000875C: BF0A4252
	s_cselect_b32 s21, s36, s60                                // 000000008760: 85153C24
	s_mov_b64 exec, s[20:21]                                   // 000000008764: BEFE0114
	global_atomic_add_f32 v6, v145, s[8:9]                     // 000000008768: DD348000 00089106
	global_atomic_add_f32 v6, v149, s[8:9] offset:256          // 000000008770: DD348100 00089506
	s_mov_b64 exec, s[36:37]                                   // 000000008778: BEFE0124
	v_mov_b32_e32 v6, v62                                      // 00000000877C: 7E0C033E
	s_mov_b64 s[60:61], 0                                      // 000000008780: BEBC0180
	v_readlane_b32 s82, v3, 4                                  // 000000008784: D2890052 00010903
	s_and_b32 s82, s82, 0xffffff                               // 00000000878C: 8652FF52 00FFFFFF
	s_cmp_lt_u32 s82, s66                                      // 000000008794: BF0A4252
	s_cselect_b32 s20, s36, s60                                // 000000008798: 85143C24
	v_readlane_b32 s82, v3, 5                                  // 00000000879C: D2890052 00010B03
	s_and_b32 s82, s82, 0xffffff                               // 0000000087A4: 8652FF52 00FFFFFF
	s_cmp_lt_u32 s82, s66                                      // 0000000087AC: BF0A4252
	s_cselect_b32 s21, s36, s60                                // 0000000087B0: 85153C24
	s_mov_b64 exec, s[20:21]                                   // 0000000087B4: BEFE0114
	global_atomic_add_f32 v6, v152, s[8:9]                     // 0000000087B8: DD348000 00089806
	global_atomic_add_f32 v6, v156, s[8:9] offset:256          // 0000000087C0: DD348100 00089C06
	s_mov_b64 exec, s[36:37]                                   // 0000000087C8: BEFE0124
	v_mov_b32_e32 v6, v63                                      // 0000000087CC: 7E0C033F
	s_mov_b64 s[60:61], 0                                      // 0000000087D0: BEBC0180
	v_readlane_b32 s82, v3, 6                                  // 0000000087D4: D2890052 00010D03
	s_and_b32 s82, s82, 0xffffff                               // 0000000087DC: 8652FF52 00FFFFFF
	s_cmp_lt_u32 s82, s66                                      // 0000000087E4: BF0A4252
	s_cselect_b32 s20, s36, s60                                // 0000000087E8: 85143C24
	v_readlane_b32 s82, v3, 7                                  // 0000000087EC: D2890052 00010F03
	s_and_b32 s82, s82, 0xffffff                               // 0000000087F4: 8652FF52 00FFFFFF
	s_cmp_lt_u32 s82, s66                                      // 0000000087FC: BF0A4252
	s_cselect_b32 s21, s36, s60                                // 000000008800: 85153C24
	s_mov_b64 exec, s[20:21]                                   // 000000008804: BEFE0114
	global_atomic_add_f32 v6, v153, s[8:9]                     // 000000008808: DD348000 00089906
	global_atomic_add_f32 v6, v157, s[8:9] offset:256          // 000000008810: DD348100 00089D06
	s_mov_b64 exec, s[36:37]                                   // 000000008818: BEFE0124
	v_mov_b32_e32 v6, v64                                      // 00000000881C: 7E0C0340
	s_mov_b64 s[60:61], 0                                      // 000000008820: BEBC0180
	v_readlane_b32 s82, v3, 8                                  // 000000008824: D2890052 00011103
	s_and_b32 s82, s82, 0xffffff                               // 00000000882C: 8652FF52 00FFFFFF
	s_cmp_lt_u32 s82, s66                                      // 000000008834: BF0A4252
	s_cselect_b32 s20, s36, s60                                // 000000008838: 85143C24
	v_readlane_b32 s82, v3, 9                                  // 00000000883C: D2890052 00011303
	s_and_b32 s82, s82, 0xffffff                               // 000000008844: 8652FF52 00FFFFFF
	s_cmp_lt_u32 s82, s66                                      // 00000000884C: BF0A4252
	s_cselect_b32 s21, s36, s60                                // 000000008850: 85153C24
	s_mov_b64 exec, s[20:21]                                   // 000000008854: BEFE0114
	global_atomic_add_f32 v6, v160, s[8:9]                     // 000000008858: DD348000 0008A006
	global_atomic_add_f32 v6, v164, s[8:9] offset:256          // 000000008860: DD348100 0008A406
	s_mov_b64 exec, s[36:37]                                   // 000000008868: BEFE0124
	v_mov_b32_e32 v6, v65                                      // 00000000886C: 7E0C0341
	s_mov_b64 s[60:61], 0                                      // 000000008870: BEBC0180
	v_readlane_b32 s82, v3, 10                                 // 000000008874: D2890052 00011503
	s_and_b32 s82, s82, 0xffffff                               // 00000000887C: 8652FF52 00FFFFFF
	s_cmp_lt_u32 s82, s66                                      // 000000008884: BF0A4252
	s_cselect_b32 s20, s36, s60                                // 000000008888: 85143C24
	v_readlane_b32 s82, v3, 11                                 // 00000000888C: D2890052 00011703
	s_and_b32 s82, s82, 0xffffff                               // 000000008894: 8652FF52 00FFFFFF
	s_cmp_lt_u32 s82, s66                                      // 00000000889C: BF0A4252
	s_cselect_b32 s21, s36, s60                                // 0000000088A0: 85153C24
	s_mov_b64 exec, s[20:21]                                   // 0000000088A4: BEFE0114
	global_atomic_add_f32 v6, v161, s[8:9]                     // 0000000088A8: DD348000 0008A106
	global_atomic_add_f32 v6, v165, s[8:9] offset:256          // 0000000088B0: DD348100 0008A506
	s_mov_b64 exec, s[36:37]                                   // 0000000088B8: BEFE0124
	v_mov_b32_e32 v6, v66                                      // 0000000088BC: 7E0C0342
	s_mov_b64 s[60:61], 0                                      // 0000000088C0: BEBC0180
	v_readlane_b32 s82, v3, 12                                 // 0000000088C4: D2890052 00011903
	s_and_b32 s82, s82, 0xffffff                               // 0000000088CC: 8652FF52 00FFFFFF
	s_cmp_lt_u32 s82, s66                                      // 0000000088D4: BF0A4252
	s_cselect_b32 s20, s36, s60                                // 0000000088D8: 85143C24
	v_readlane_b32 s82, v3, 13                                 // 0000000088DC: D2890052 00011B03
	s_and_b32 s82, s82, 0xffffff                               // 0000000088E4: 8652FF52 00FFFFFF
	s_cmp_lt_u32 s82, s66                                      // 0000000088EC: BF0A4252
	s_cselect_b32 s21, s36, s60                                // 0000000088F0: 85153C24
	s_mov_b64 exec, s[20:21]                                   // 0000000088F4: BEFE0114
	global_atomic_add_f32 v6, v168, s[8:9]                     // 0000000088F8: DD348000 0008A806
	global_atomic_add_f32 v6, v172, s[8:9] offset:256          // 000000008900: DD348100 0008AC06
	s_mov_b64 exec, s[36:37]                                   // 000000008908: BEFE0124
	v_mov_b32_e32 v6, v67                                      // 00000000890C: 7E0C0343
	s_mov_b64 s[60:61], 0                                      // 000000008910: BEBC0180
	v_readlane_b32 s82, v3, 14                                 // 000000008914: D2890052 00011D03
	s_and_b32 s82, s82, 0xffffff                               // 00000000891C: 8652FF52 00FFFFFF
	s_cmp_lt_u32 s82, s66                                      // 000000008924: BF0A4252
	s_cselect_b32 s20, s36, s60                                // 000000008928: 85143C24
	v_readlane_b32 s82, v3, 15                                 // 00000000892C: D2890052 00011F03
	s_and_b32 s82, s82, 0xffffff                               // 000000008934: 8652FF52 00FFFFFF
	s_cmp_lt_u32 s82, s66                                      // 00000000893C: BF0A4252
	s_cselect_b32 s21, s36, s60                                // 000000008940: 85153C24
	s_mov_b64 exec, s[20:21]                                   // 000000008944: BEFE0114
	global_atomic_add_f32 v6, v169, s[8:9]                     // 000000008948: DD348000 0008A906
	global_atomic_add_f32 v6, v173, s[8:9] offset:256          // 000000008950: DD348100 0008AD06
	s_mov_b64 exec, s[36:37]                                   // 000000008958: BEFE0124
	v_mov_b32_e32 v6, v68                                      // 00000000895C: 7E0C0344
	s_mov_b64 s[60:61], 0                                      // 000000008960: BEBC0180
	v_readlane_b32 s82, v3, 16                                 // 000000008964: D2890052 00012103
	s_and_b32 s82, s82, 0xffffff                               // 00000000896C: 8652FF52 00FFFFFF
	s_cmp_lt_u32 s82, s66                                      // 000000008974: BF0A4252
	s_cselect_b32 s20, s36, s60                                // 000000008978: 85143C24
	v_readlane_b32 s82, v3, 17                                 // 00000000897C: D2890052 00012303
	s_and_b32 s82, s82, 0xffffff                               // 000000008984: 8652FF52 00FFFFFF
	s_cmp_lt_u32 s82, s66                                      // 00000000898C: BF0A4252
	s_cselect_b32 s21, s36, s60                                // 000000008990: 85153C24
	s_mov_b64 exec, s[20:21]                                   // 000000008994: BEFE0114
	global_atomic_add_f32 v6, v176, s[8:9]                     // 000000008998: DD348000 0008B006
	global_atomic_add_f32 v6, v180, s[8:9] offset:256          // 0000000089A0: DD348100 0008B406
	s_mov_b64 exec, s[36:37]                                   // 0000000089A8: BEFE0124
	v_mov_b32_e32 v6, v69                                      // 0000000089AC: 7E0C0345
	s_mov_b64 s[60:61], 0                                      // 0000000089B0: BEBC0180
	v_readlane_b32 s82, v3, 18                                 // 0000000089B4: D2890052 00012503
	s_and_b32 s82, s82, 0xffffff                               // 0000000089BC: 8652FF52 00FFFFFF
	s_cmp_lt_u32 s82, s66                                      // 0000000089C4: BF0A4252
	s_cselect_b32 s20, s36, s60                                // 0000000089C8: 85143C24
	v_readlane_b32 s82, v3, 19                                 // 0000000089CC: D2890052 00012703
	s_and_b32 s82, s82, 0xffffff                               // 0000000089D4: 8652FF52 00FFFFFF
	s_cmp_lt_u32 s82, s66                                      // 0000000089DC: BF0A4252
	s_cselect_b32 s21, s36, s60                                // 0000000089E0: 85153C24
	s_mov_b64 exec, s[20:21]                                   // 0000000089E4: BEFE0114
	global_atomic_add_f32 v6, v177, s[8:9]                     // 0000000089E8: DD348000 0008B106
	global_atomic_add_f32 v6, v181, s[8:9] offset:256          // 0000000089F0: DD348100 0008B506
	s_mov_b64 exec, s[36:37]                                   // 0000000089F8: BEFE0124
	v_mov_b32_e32 v6, v70                                      // 0000000089FC: 7E0C0346
	s_mov_b64 s[60:61], 0                                      // 000000008A00: BEBC0180
	v_readlane_b32 s82, v3, 20                                 // 000000008A04: D2890052 00012903
	s_and_b32 s82, s82, 0xffffff                               // 000000008A0C: 8652FF52 00FFFFFF
	s_cmp_lt_u32 s82, s66                                      // 000000008A14: BF0A4252
	s_cselect_b32 s20, s36, s60                                // 000000008A18: 85143C24
	v_readlane_b32 s82, v3, 21                                 // 000000008A1C: D2890052 00012B03
	s_and_b32 s82, s82, 0xffffff                               // 000000008A24: 8652FF52 00FFFFFF
	s_cmp_lt_u32 s82, s66                                      // 000000008A2C: BF0A4252
	s_cselect_b32 s21, s36, s60                                // 000000008A30: 85153C24
	s_mov_b64 exec, s[20:21]                                   // 000000008A34: BEFE0114
	global_atomic_add_f32 v6, v184, s[8:9]                     // 000000008A38: DD348000 0008B806
	global_atomic_add_f32 v6, v188, s[8:9] offset:256          // 000000008A40: DD348100 0008BC06
	s_mov_b64 exec, s[36:37]                                   // 000000008A48: BEFE0124
	v_mov_b32_e32 v6, v71                                      // 000000008A4C: 7E0C0347
	s_mov_b64 s[60:61], 0                                      // 000000008A50: BEBC0180
	v_readlane_b32 s82, v3, 22                                 // 000000008A54: D2890052 00012D03
	s_and_b32 s82, s82, 0xffffff                               // 000000008A5C: 8652FF52 00FFFFFF
	s_cmp_lt_u32 s82, s66                                      // 000000008A64: BF0A4252
	s_cselect_b32 s20, s36, s60                                // 000000008A68: 85143C24
	v_readlane_b32 s82, v3, 23                                 // 000000008A6C: D2890052 00012F03
	s_and_b32 s82, s82, 0xffffff                               // 000000008A74: 8652FF52 00FFFFFF
	s_cmp_lt_u32 s82, s66                                      // 000000008A7C: BF0A4252
	s_cselect_b32 s21, s36, s60                                // 000000008A80: 85153C24
	s_mov_b64 exec, s[20:21]                                   // 000000008A84: BEFE0114
	global_atomic_add_f32 v6, v185, s[8:9]                     // 000000008A88: DD348000 0008B906
	global_atomic_add_f32 v6, v189, s[8:9] offset:256          // 000000008A90: DD348100 0008BD06
	s_mov_b64 exec, s[36:37]                                   // 000000008A98: BEFE0124
	v_mov_b32_e32 v6, v72                                      // 000000008A9C: 7E0C0348
	s_mov_b64 s[60:61], 0                                      // 000000008AA0: BEBC0180
	v_readlane_b32 s82, v3, 24                                 // 000000008AA4: D2890052 00013103
	s_and_b32 s82, s82, 0xffffff                               // 000000008AAC: 8652FF52 00FFFFFF
	s_cmp_lt_u32 s82, s66                                      // 000000008AB4: BF0A4252
	s_cselect_b32 s20, s36, s60                                // 000000008AB8: 85143C24
	v_readlane_b32 s82, v3, 25                                 // 000000008ABC: D2890052 00013303
	s_and_b32 s82, s82, 0xffffff                               // 000000008AC4: 8652FF52 00FFFFFF
	s_cmp_lt_u32 s82, s66                                      // 000000008ACC: BF0A4252
	s_cselect_b32 s21, s36, s60                                // 000000008AD0: 85153C24
	s_mov_b64 exec, s[20:21]                                   // 000000008AD4: BEFE0114
	global_atomic_add_f32 v6, v192, s[8:9]                     // 000000008AD8: DD348000 0008C006
	global_atomic_add_f32 v6, v196, s[8:9] offset:256          // 000000008AE0: DD348100 0008C406
	s_mov_b64 exec, s[36:37]                                   // 000000008AE8: BEFE0124
	v_mov_b32_e32 v6, v73                                      // 000000008AEC: 7E0C0349
	s_mov_b64 s[60:61], 0                                      // 000000008AF0: BEBC0180
	v_readlane_b32 s82, v3, 26                                 // 000000008AF4: D2890052 00013503
	s_and_b32 s82, s82, 0xffffff                               // 000000008AFC: 8652FF52 00FFFFFF
	s_cmp_lt_u32 s82, s66                                      // 000000008B04: BF0A4252
	s_cselect_b32 s20, s36, s60                                // 000000008B08: 85143C24
	v_readlane_b32 s82, v3, 27                                 // 000000008B0C: D2890052 00013703
	s_and_b32 s82, s82, 0xffffff                               // 000000008B14: 8652FF52 00FFFFFF
	s_cmp_lt_u32 s82, s66                                      // 000000008B1C: BF0A4252
	s_cselect_b32 s21, s36, s60                                // 000000008B20: 85153C24
	s_mov_b64 exec, s[20:21]                                   // 000000008B24: BEFE0114
	global_atomic_add_f32 v6, v193, s[8:9]                     // 000000008B28: DD348000 0008C106
	global_atomic_add_f32 v6, v197, s[8:9] offset:256          // 000000008B30: DD348100 0008C506
	s_mov_b64 exec, s[36:37]                                   // 000000008B38: BEFE0124
	v_mov_b32_e32 v6, v74                                      // 000000008B3C: 7E0C034A
	s_mov_b64 s[60:61], 0                                      // 000000008B40: BEBC0180
	v_readlane_b32 s82, v3, 28                                 // 000000008B44: D2890052 00013903
	s_and_b32 s82, s82, 0xffffff                               // 000000008B4C: 8652FF52 00FFFFFF
	s_cmp_lt_u32 s82, s66                                      // 000000008B54: BF0A4252
	s_cselect_b32 s20, s36, s60                                // 000000008B58: 85143C24
	v_readlane_b32 s82, v3, 29                                 // 000000008B5C: D2890052 00013B03
	s_and_b32 s82, s82, 0xffffff                               // 000000008B64: 8652FF52 00FFFFFF
	s_cmp_lt_u32 s82, s66                                      // 000000008B6C: BF0A4252
	s_cselect_b32 s21, s36, s60                                // 000000008B70: 85153C24
	s_mov_b64 exec, s[20:21]                                   // 000000008B74: BEFE0114
	global_atomic_add_f32 v6, v200, s[8:9]                     // 000000008B78: DD348000 0008C806
	global_atomic_add_f32 v6, v204, s[8:9] offset:256          // 000000008B80: DD348100 0008CC06
	s_mov_b64 exec, s[36:37]                                   // 000000008B88: BEFE0124
	v_mov_b32_e32 v6, v75                                      // 000000008B8C: 7E0C034B
	s_mov_b64 s[60:61], 0                                      // 000000008B90: BEBC0180
	v_readlane_b32 s82, v3, 30                                 // 000000008B94: D2890052 00013D03
	s_and_b32 s82, s82, 0xffffff                               // 000000008B9C: 8652FF52 00FFFFFF
	s_cmp_lt_u32 s82, s66                                      // 000000008BA4: BF0A4252
	s_cselect_b32 s20, s36, s60                                // 000000008BA8: 85143C24
	v_readlane_b32 s82, v3, 31                                 // 000000008BAC: D2890052 00013F03
	s_and_b32 s82, s82, 0xffffff                               // 000000008BB4: 8652FF52 00FFFFFF
	s_cmp_lt_u32 s82, s66                                      // 000000008BBC: BF0A4252
	s_cselect_b32 s21, s36, s60                                // 000000008BC0: 85153C24
	s_mov_b64 exec, s[20:21]                                   // 000000008BC4: BEFE0114
	global_atomic_add_f32 v6, v201, s[8:9]                     // 000000008BC8: DD348000 0008C906
	global_atomic_add_f32 v6, v205, s[8:9] offset:256          // 000000008BD0: DD348100 0008CD06
	s_mov_b64 exec, s[36:37]                                   // 000000008BD8: BEFE0124
	ds_write_b64 v20, v[146:147]                               // 000000008BDC: D89A0000 00009214
	ds_write_b64 v20, v[150:151] offset:4352                   // 000000008BE4: D89A1100 00009614
	ds_write_b64 v20, v[154:155] offset:8704                   // 000000008BEC: D89A2200 00009A14
	ds_write_b64 v20, v[158:159] offset:13056                  // 000000008BF4: D89A3300 00009E14
	ds_write_b64 v20, v[162:163] offset:17408                  // 000000008BFC: D89A4400 0000A214
	ds_write_b64 v20, v[166:167] offset:21760                  // 000000008C04: D89A5500 0000A614
	ds_write_b64 v20, v[170:171] offset:26112                  // 000000008C0C: D89A6600 0000AA14
	ds_write_b64 v20, v[174:175] offset:30464                  // 000000008C14: D89A7700 0000AE14
	ds_write_b64 v20, v[178:179] offset:2176                   // 000000008C1C: D89A0880 0000B214
	ds_write_b64 v20, v[182:183] offset:6528                   // 000000008C24: D89A1980 0000B614
	ds_write_b64 v20, v[186:187] offset:10880                  // 000000008C2C: D89A2A80 0000BA14
	ds_write_b64 v20, v[190:191] offset:15232                  // 000000008C34: D89A3B80 0000BE14
	ds_write_b64 v20, v[194:195] offset:19584                  // 000000008C3C: D89A4C80 0000C214
	ds_write_b64 v20, v[198:199] offset:23936                  // 000000008C44: D89A5D80 0000C614
	ds_write_b64 v20, v[202:203] offset:28288                  // 000000008C4C: D89A6E80 0000CA14
	ds_write_b64 v20, v[206:207] offset:32640                  // 000000008C54: D89A7F80 0000CE14
	s_waitcnt lgkmcnt(0)                                       // 000000008C5C: BF8CC07F
	s_barrier                                                  // 000000008C60: BF8A0000
	ds_read_b32 v146, v21                                      // 000000008C64: D86C0000 92000015
	ds_read_b32 v147, v21 offset:64                            // 000000008C6C: D86C0040 93000015
	ds_read_b32 v150, v21 offset:2176                          // 000000008C74: D86C0880 96000015
	ds_read_b32 v151, v21 offset:2240                          // 000000008C7C: D86C08C0 97000015
	ds_read_b32 v154, v21 offset:4352                          // 000000008C84: D86C1100 9A000015
	ds_read_b32 v155, v21 offset:4416                          // 000000008C8C: D86C1140 9B000015
	ds_read_b32 v158, v21 offset:6528                          // 000000008C94: D86C1980 9E000015
	ds_read_b32 v159, v21 offset:6592                          // 000000008C9C: D86C19C0 9F000015
	ds_read_b32 v162, v21 offset:8704                          // 000000008CA4: D86C2200 A2000015
	ds_read_b32 v163, v21 offset:8768                          // 000000008CAC: D86C2240 A3000015
	ds_read_b32 v166, v21 offset:10880                         // 000000008CB4: D86C2A80 A6000015
	ds_read_b32 v167, v21 offset:10944                         // 000000008CBC: D86C2AC0 A7000015
	ds_read_b32 v170, v21 offset:13056                         // 000000008CC4: D86C3300 AA000015
	ds_read_b32 v171, v21 offset:13120                         // 000000008CCC: D86C3340 AB000015
	ds_read_b32 v174, v21 offset:15232                         // 000000008CD4: D86C3B80 AE000015
	ds_read_b32 v175, v21 offset:15296                         // 000000008CDC: D86C3BC0 AF000015
	ds_read_b32 v178, v21 offset:17408                         // 000000008CE4: D86C4400 B2000015
	ds_read_b32 v179, v21 offset:17472                         // 000000008CEC: D86C4440 B3000015
	ds_read_b32 v182, v21 offset:19584                         // 000000008CF4: D86C4C80 B6000015
	ds_read_b32 v183, v21 offset:19648                         // 000000008CFC: D86C4CC0 B7000015
	ds_read_b32 v186, v21 offset:21760                         // 000000008D04: D86C5500 BA000015
	ds_read_b32 v187, v21 offset:21824                         // 000000008D0C: D86C5540 BB000015
	ds_read_b32 v190, v21 offset:23936                         // 000000008D14: D86C5D80 BE000015
	ds_read_b32 v191, v21 offset:24000                         // 000000008D1C: D86C5DC0 BF000015
	ds_read_b32 v194, v21 offset:26112                         // 000000008D24: D86C6600 C2000015
	ds_read_b32 v195, v21 offset:26176                         // 000000008D2C: D86C6640 C3000015
	ds_read_b32 v198, v21 offset:28288                         // 000000008D34: D86C6E80 C6000015
	ds_read_b32 v199, v21 offset:28352                         // 000000008D3C: D86C6EC0 C7000015
	ds_read_b32 v202, v21 offset:30464                         // 000000008D44: D86C7700 CA000015
	ds_read_b32 v203, v21 offset:30528                         // 000000008D4C: D86C7740 CB000015
	ds_read_b32 v206, v21 offset:32640                         // 000000008D54: D86C7F80 CE000015
	ds_read_b32 v207, v21 offset:32704                         // 000000008D5C: D86C7FC0 CF000015
	s_waitcnt lgkmcnt(0)                                       // 000000008D64: BF8CC07F
	v_mov_b32_e32 v7, 0                                        // 000000008D68: 7E0E0280
	s_mov_b64 exec, s[36:37]                                   // 000000008D6C: BEFE0124
	v_mov_b32_e32 v6, v60                                      // 000000008D70: 7E0C033C
	s_mov_b64 s[60:61], 0                                      // 000000008D74: BEBC0180
	v_readlane_b32 s82, v3, 0                                  // 000000008D78: D2890052 00010103
	s_and_b32 s82, s82, 0xffffff                               // 000000008D80: 8652FF52 00FFFFFF
	s_cmp_lt_u32 s82, s66                                      // 000000008D88: BF0A4252
	s_cselect_b32 s20, s36, s60                                // 000000008D8C: 85143C24
	v_readlane_b32 s82, v3, 1                                  // 000000008D90: D2890052 00010303
	s_and_b32 s82, s82, 0xffffff                               // 000000008D98: 8652FF52 00FFFFFF
	s_cmp_lt_u32 s82, s66                                      // 000000008DA0: BF0A4252
	s_cselect_b32 s21, s36, s60                                // 000000008DA4: 85153C24
	s_mov_b64 exec, s[20:21]                                   // 000000008DA8: BEFE0114
	global_atomic_add_f32 v6, v146, s[8:9] offset:8            // 000000008DAC: DD348008 00089206
	global_atomic_add_f32 v6, v150, s[8:9] offset:264          // 000000008DB4: DD348108 00089606
	s_mov_b64 exec, s[36:37]                                   // 000000008DBC: BEFE0124
	v_mov_b32_e32 v6, v61                                      // 000000008DC0: 7E0C033D
	s_mov_b64 s[60:61], 0                                      // 000000008DC4: BEBC0180
	v_readlane_b32 s82, v3, 2                                  // 000000008DC8: D2890052 00010503
	s_and_b32 s82, s82, 0xffffff                               // 000000008DD0: 8652FF52 00FFFFFF
	s_cmp_lt_u32 s82, s66                                      // 000000008DD8: BF0A4252
	s_cselect_b32 s20, s36, s60                                // 000000008DDC: 85143C24
	v_readlane_b32 s82, v3, 3                                  // 000000008DE0: D2890052 00010703
	s_and_b32 s82, s82, 0xffffff                               // 000000008DE8: 8652FF52 00FFFFFF
	s_cmp_lt_u32 s82, s66                                      // 000000008DF0: BF0A4252
	s_cselect_b32 s21, s36, s60                                // 000000008DF4: 85153C24
	s_mov_b64 exec, s[20:21]                                   // 000000008DF8: BEFE0114
	global_atomic_add_f32 v6, v147, s[8:9] offset:8            // 000000008DFC: DD348008 00089306
	global_atomic_add_f32 v6, v151, s[8:9] offset:264          // 000000008E04: DD348108 00089706
	s_mov_b64 exec, s[36:37]                                   // 000000008E0C: BEFE0124
	v_mov_b32_e32 v6, v62                                      // 000000008E10: 7E0C033E
	s_mov_b64 s[60:61], 0                                      // 000000008E14: BEBC0180
	v_readlane_b32 s82, v3, 4                                  // 000000008E18: D2890052 00010903
	s_and_b32 s82, s82, 0xffffff                               // 000000008E20: 8652FF52 00FFFFFF
	s_cmp_lt_u32 s82, s66                                      // 000000008E28: BF0A4252
	s_cselect_b32 s20, s36, s60                                // 000000008E2C: 85143C24
	v_readlane_b32 s82, v3, 5                                  // 000000008E30: D2890052 00010B03
	s_and_b32 s82, s82, 0xffffff                               // 000000008E38: 8652FF52 00FFFFFF
	s_cmp_lt_u32 s82, s66                                      // 000000008E40: BF0A4252
	s_cselect_b32 s21, s36, s60                                // 000000008E44: 85153C24
	s_mov_b64 exec, s[20:21]                                   // 000000008E48: BEFE0114
	global_atomic_add_f32 v6, v154, s[8:9] offset:8            // 000000008E4C: DD348008 00089A06
	global_atomic_add_f32 v6, v158, s[8:9] offset:264          // 000000008E54: DD348108 00089E06
	s_mov_b64 exec, s[36:37]                                   // 000000008E5C: BEFE0124
	v_mov_b32_e32 v6, v63                                      // 000000008E60: 7E0C033F
	s_mov_b64 s[60:61], 0                                      // 000000008E64: BEBC0180
	v_readlane_b32 s82, v3, 6                                  // 000000008E68: D2890052 00010D03
	s_and_b32 s82, s82, 0xffffff                               // 000000008E70: 8652FF52 00FFFFFF
	s_cmp_lt_u32 s82, s66                                      // 000000008E78: BF0A4252
	s_cselect_b32 s20, s36, s60                                // 000000008E7C: 85143C24
	v_readlane_b32 s82, v3, 7                                  // 000000008E80: D2890052 00010F03
	s_and_b32 s82, s82, 0xffffff                               // 000000008E88: 8652FF52 00FFFFFF
	s_cmp_lt_u32 s82, s66                                      // 000000008E90: BF0A4252
	s_cselect_b32 s21, s36, s60                                // 000000008E94: 85153C24
	s_mov_b64 exec, s[20:21]                                   // 000000008E98: BEFE0114
	global_atomic_add_f32 v6, v155, s[8:9] offset:8            // 000000008E9C: DD348008 00089B06
	global_atomic_add_f32 v6, v159, s[8:9] offset:264          // 000000008EA4: DD348108 00089F06
	s_mov_b64 exec, s[36:37]                                   // 000000008EAC: BEFE0124
	v_mov_b32_e32 v6, v64                                      // 000000008EB0: 7E0C0340
	s_mov_b64 s[60:61], 0                                      // 000000008EB4: BEBC0180
	v_readlane_b32 s82, v3, 8                                  // 000000008EB8: D2890052 00011103
	s_and_b32 s82, s82, 0xffffff                               // 000000008EC0: 8652FF52 00FFFFFF
	s_cmp_lt_u32 s82, s66                                      // 000000008EC8: BF0A4252
	s_cselect_b32 s20, s36, s60                                // 000000008ECC: 85143C24
	v_readlane_b32 s82, v3, 9                                  // 000000008ED0: D2890052 00011303
	s_and_b32 s82, s82, 0xffffff                               // 000000008ED8: 8652FF52 00FFFFFF
	s_cmp_lt_u32 s82, s66                                      // 000000008EE0: BF0A4252
	s_cselect_b32 s21, s36, s60                                // 000000008EE4: 85153C24
	s_mov_b64 exec, s[20:21]                                   // 000000008EE8: BEFE0114
	global_atomic_add_f32 v6, v162, s[8:9] offset:8            // 000000008EEC: DD348008 0008A206
	global_atomic_add_f32 v6, v166, s[8:9] offset:264          // 000000008EF4: DD348108 0008A606
	s_mov_b64 exec, s[36:37]                                   // 000000008EFC: BEFE0124
	v_mov_b32_e32 v6, v65                                      // 000000008F00: 7E0C0341
	s_mov_b64 s[60:61], 0                                      // 000000008F04: BEBC0180
	v_readlane_b32 s82, v3, 10                                 // 000000008F08: D2890052 00011503
	s_and_b32 s82, s82, 0xffffff                               // 000000008F10: 8652FF52 00FFFFFF
	s_cmp_lt_u32 s82, s66                                      // 000000008F18: BF0A4252
	s_cselect_b32 s20, s36, s60                                // 000000008F1C: 85143C24
	v_readlane_b32 s82, v3, 11                                 // 000000008F20: D2890052 00011703
	s_and_b32 s82, s82, 0xffffff                               // 000000008F28: 8652FF52 00FFFFFF
	s_cmp_lt_u32 s82, s66                                      // 000000008F30: BF0A4252
	s_cselect_b32 s21, s36, s60                                // 000000008F34: 85153C24
	s_mov_b64 exec, s[20:21]                                   // 000000008F38: BEFE0114
	global_atomic_add_f32 v6, v163, s[8:9] offset:8            // 000000008F3C: DD348008 0008A306
	global_atomic_add_f32 v6, v167, s[8:9] offset:264          // 000000008F44: DD348108 0008A706
	s_mov_b64 exec, s[36:37]                                   // 000000008F4C: BEFE0124
	v_mov_b32_e32 v6, v66                                      // 000000008F50: 7E0C0342
	s_mov_b64 s[60:61], 0                                      // 000000008F54: BEBC0180
	v_readlane_b32 s82, v3, 12                                 // 000000008F58: D2890052 00011903
	s_and_b32 s82, s82, 0xffffff                               // 000000008F60: 8652FF52 00FFFFFF
	s_cmp_lt_u32 s82, s66                                      // 000000008F68: BF0A4252
	s_cselect_b32 s20, s36, s60                                // 000000008F6C: 85143C24
	v_readlane_b32 s82, v3, 13                                 // 000000008F70: D2890052 00011B03
	s_and_b32 s82, s82, 0xffffff                               // 000000008F78: 8652FF52 00FFFFFF
	s_cmp_lt_u32 s82, s66                                      // 000000008F80: BF0A4252
	s_cselect_b32 s21, s36, s60                                // 000000008F84: 85153C24
	s_mov_b64 exec, s[20:21]                                   // 000000008F88: BEFE0114
	global_atomic_add_f32 v6, v170, s[8:9] offset:8            // 000000008F8C: DD348008 0008AA06
	global_atomic_add_f32 v6, v174, s[8:9] offset:264          // 000000008F94: DD348108 0008AE06
	s_mov_b64 exec, s[36:37]                                   // 000000008F9C: BEFE0124
	v_mov_b32_e32 v6, v67                                      // 000000008FA0: 7E0C0343
	s_mov_b64 s[60:61], 0                                      // 000000008FA4: BEBC0180
	v_readlane_b32 s82, v3, 14                                 // 000000008FA8: D2890052 00011D03
	s_and_b32 s82, s82, 0xffffff                               // 000000008FB0: 8652FF52 00FFFFFF
	s_cmp_lt_u32 s82, s66                                      // 000000008FB8: BF0A4252
	s_cselect_b32 s20, s36, s60                                // 000000008FBC: 85143C24
	v_readlane_b32 s82, v3, 15                                 // 000000008FC0: D2890052 00011F03
	s_and_b32 s82, s82, 0xffffff                               // 000000008FC8: 8652FF52 00FFFFFF
	s_cmp_lt_u32 s82, s66                                      // 000000008FD0: BF0A4252
	s_cselect_b32 s21, s36, s60                                // 000000008FD4: 85153C24
	s_mov_b64 exec, s[20:21]                                   // 000000008FD8: BEFE0114
	global_atomic_add_f32 v6, v171, s[8:9] offset:8            // 000000008FDC: DD348008 0008AB06
	global_atomic_add_f32 v6, v175, s[8:9] offset:264          // 000000008FE4: DD348108 0008AF06
	s_mov_b64 exec, s[36:37]                                   // 000000008FEC: BEFE0124
	v_mov_b32_e32 v6, v68                                      // 000000008FF0: 7E0C0344
	s_mov_b64 s[60:61], 0                                      // 000000008FF4: BEBC0180
	v_readlane_b32 s82, v3, 16                                 // 000000008FF8: D2890052 00012103
	s_and_b32 s82, s82, 0xffffff                               // 000000009000: 8652FF52 00FFFFFF
	s_cmp_lt_u32 s82, s66                                      // 000000009008: BF0A4252
	s_cselect_b32 s20, s36, s60                                // 00000000900C: 85143C24
	v_readlane_b32 s82, v3, 17                                 // 000000009010: D2890052 00012303
	s_and_b32 s82, s82, 0xffffff                               // 000000009018: 8652FF52 00FFFFFF
	s_cmp_lt_u32 s82, s66                                      // 000000009020: BF0A4252
	s_cselect_b32 s21, s36, s60                                // 000000009024: 85153C24
	s_mov_b64 exec, s[20:21]                                   // 000000009028: BEFE0114
	global_atomic_add_f32 v6, v178, s[8:9] offset:8            // 00000000902C: DD348008 0008B206
	global_atomic_add_f32 v6, v182, s[8:9] offset:264          // 000000009034: DD348108 0008B606
	s_mov_b64 exec, s[36:37]                                   // 00000000903C: BEFE0124
	v_mov_b32_e32 v6, v69                                      // 000000009040: 7E0C0345
	s_mov_b64 s[60:61], 0                                      // 000000009044: BEBC0180
	v_readlane_b32 s82, v3, 18                                 // 000000009048: D2890052 00012503
	s_and_b32 s82, s82, 0xffffff                               // 000000009050: 8652FF52 00FFFFFF
	s_cmp_lt_u32 s82, s66                                      // 000000009058: BF0A4252
	s_cselect_b32 s20, s36, s60                                // 00000000905C: 85143C24
	v_readlane_b32 s82, v3, 19                                 // 000000009060: D2890052 00012703
	s_and_b32 s82, s82, 0xffffff                               // 000000009068: 8652FF52 00FFFFFF
	s_cmp_lt_u32 s82, s66                                      // 000000009070: BF0A4252
	s_cselect_b32 s21, s36, s60                                // 000000009074: 85153C24
	s_mov_b64 exec, s[20:21]                                   // 000000009078: BEFE0114
	global_atomic_add_f32 v6, v179, s[8:9] offset:8            // 00000000907C: DD348008 0008B306
	global_atomic_add_f32 v6, v183, s[8:9] offset:264          // 000000009084: DD348108 0008B706
	s_mov_b64 exec, s[36:37]                                   // 00000000908C: BEFE0124
	v_mov_b32_e32 v6, v70                                      // 000000009090: 7E0C0346
	s_mov_b64 s[60:61], 0                                      // 000000009094: BEBC0180
	v_readlane_b32 s82, v3, 20                                 // 000000009098: D2890052 00012903
	s_and_b32 s82, s82, 0xffffff                               // 0000000090A0: 8652FF52 00FFFFFF
	s_cmp_lt_u32 s82, s66                                      // 0000000090A8: BF0A4252
	s_cselect_b32 s20, s36, s60                                // 0000000090AC: 85143C24
	v_readlane_b32 s82, v3, 21                                 // 0000000090B0: D2890052 00012B03
	s_and_b32 s82, s82, 0xffffff                               // 0000000090B8: 8652FF52 00FFFFFF
	s_cmp_lt_u32 s82, s66                                      // 0000000090C0: BF0A4252
	s_cselect_b32 s21, s36, s60                                // 0000000090C4: 85153C24
	s_mov_b64 exec, s[20:21]                                   // 0000000090C8: BEFE0114
	global_atomic_add_f32 v6, v186, s[8:9] offset:8            // 0000000090CC: DD348008 0008BA06
	global_atomic_add_f32 v6, v190, s[8:9] offset:264          // 0000000090D4: DD348108 0008BE06
	s_mov_b64 exec, s[36:37]                                   // 0000000090DC: BEFE0124
	v_mov_b32_e32 v6, v71                                      // 0000000090E0: 7E0C0347
	s_mov_b64 s[60:61], 0                                      // 0000000090E4: BEBC0180
	v_readlane_b32 s82, v3, 22                                 // 0000000090E8: D2890052 00012D03
	s_and_b32 s82, s82, 0xffffff                               // 0000000090F0: 8652FF52 00FFFFFF
	s_cmp_lt_u32 s82, s66                                      // 0000000090F8: BF0A4252
	s_cselect_b32 s20, s36, s60                                // 0000000090FC: 85143C24
	v_readlane_b32 s82, v3, 23                                 // 000000009100: D2890052 00012F03
	s_and_b32 s82, s82, 0xffffff                               // 000000009108: 8652FF52 00FFFFFF
	s_cmp_lt_u32 s82, s66                                      // 000000009110: BF0A4252
	s_cselect_b32 s21, s36, s60                                // 000000009114: 85153C24
	s_mov_b64 exec, s[20:21]                                   // 000000009118: BEFE0114
	global_atomic_add_f32 v6, v187, s[8:9] offset:8            // 00000000911C: DD348008 0008BB06
	global_atomic_add_f32 v6, v191, s[8:9] offset:264          // 000000009124: DD348108 0008BF06
	s_mov_b64 exec, s[36:37]                                   // 00000000912C: BEFE0124
	v_mov_b32_e32 v6, v72                                      // 000000009130: 7E0C0348
	s_mov_b64 s[60:61], 0                                      // 000000009134: BEBC0180
	v_readlane_b32 s82, v3, 24                                 // 000000009138: D2890052 00013103
	s_and_b32 s82, s82, 0xffffff                               // 000000009140: 8652FF52 00FFFFFF
	s_cmp_lt_u32 s82, s66                                      // 000000009148: BF0A4252
	s_cselect_b32 s20, s36, s60                                // 00000000914C: 85143C24
	v_readlane_b32 s82, v3, 25                                 // 000000009150: D2890052 00013303
	s_and_b32 s82, s82, 0xffffff                               // 000000009158: 8652FF52 00FFFFFF
	s_cmp_lt_u32 s82, s66                                      // 000000009160: BF0A4252
	s_cselect_b32 s21, s36, s60                                // 000000009164: 85153C24
	s_mov_b64 exec, s[20:21]                                   // 000000009168: BEFE0114
	global_atomic_add_f32 v6, v194, s[8:9] offset:8            // 00000000916C: DD348008 0008C206
	global_atomic_add_f32 v6, v198, s[8:9] offset:264          // 000000009174: DD348108 0008C606
	s_mov_b64 exec, s[36:37]                                   // 00000000917C: BEFE0124
	v_mov_b32_e32 v6, v73                                      // 000000009180: 7E0C0349
	s_mov_b64 s[60:61], 0                                      // 000000009184: BEBC0180
	v_readlane_b32 s82, v3, 26                                 // 000000009188: D2890052 00013503
	s_and_b32 s82, s82, 0xffffff                               // 000000009190: 8652FF52 00FFFFFF
	s_cmp_lt_u32 s82, s66                                      // 000000009198: BF0A4252
	s_cselect_b32 s20, s36, s60                                // 00000000919C: 85143C24
	v_readlane_b32 s82, v3, 27                                 // 0000000091A0: D2890052 00013703
	s_and_b32 s82, s82, 0xffffff                               // 0000000091A8: 8652FF52 00FFFFFF
	s_cmp_lt_u32 s82, s66                                      // 0000000091B0: BF0A4252
	s_cselect_b32 s21, s36, s60                                // 0000000091B4: 85153C24
	s_mov_b64 exec, s[20:21]                                   // 0000000091B8: BEFE0114
	global_atomic_add_f32 v6, v195, s[8:9] offset:8            // 0000000091BC: DD348008 0008C306
	global_atomic_add_f32 v6, v199, s[8:9] offset:264          // 0000000091C4: DD348108 0008C706
	s_mov_b64 exec, s[36:37]                                   // 0000000091CC: BEFE0124
	v_mov_b32_e32 v6, v74                                      // 0000000091D0: 7E0C034A
	s_mov_b64 s[60:61], 0                                      // 0000000091D4: BEBC0180
	v_readlane_b32 s82, v3, 28                                 // 0000000091D8: D2890052 00013903
	s_and_b32 s82, s82, 0xffffff                               // 0000000091E0: 8652FF52 00FFFFFF
	s_cmp_lt_u32 s82, s66                                      // 0000000091E8: BF0A4252
	s_cselect_b32 s20, s36, s60                                // 0000000091EC: 85143C24
	v_readlane_b32 s82, v3, 29                                 // 0000000091F0: D2890052 00013B03
	s_and_b32 s82, s82, 0xffffff                               // 0000000091F8: 8652FF52 00FFFFFF
	s_cmp_lt_u32 s82, s66                                      // 000000009200: BF0A4252
	s_cselect_b32 s21, s36, s60                                // 000000009204: 85153C24
	s_mov_b64 exec, s[20:21]                                   // 000000009208: BEFE0114
	global_atomic_add_f32 v6, v202, s[8:9] offset:8            // 00000000920C: DD348008 0008CA06
	global_atomic_add_f32 v6, v206, s[8:9] offset:264          // 000000009214: DD348108 0008CE06
	s_mov_b64 exec, s[36:37]                                   // 00000000921C: BEFE0124
	v_mov_b32_e32 v6, v75                                      // 000000009220: 7E0C034B
	s_mov_b64 s[60:61], 0                                      // 000000009224: BEBC0180
	v_readlane_b32 s82, v3, 30                                 // 000000009228: D2890052 00013D03
	s_and_b32 s82, s82, 0xffffff                               // 000000009230: 8652FF52 00FFFFFF
	s_cmp_lt_u32 s82, s66                                      // 000000009238: BF0A4252
	s_cselect_b32 s20, s36, s60                                // 00000000923C: 85143C24
	v_readlane_b32 s82, v3, 31                                 // 000000009240: D2890052 00013F03
	s_and_b32 s82, s82, 0xffffff                               // 000000009248: 8652FF52 00FFFFFF
	s_cmp_lt_u32 s82, s66                                      // 000000009250: BF0A4252
	s_cselect_b32 s21, s36, s60                                // 000000009254: 85153C24
	s_mov_b64 exec, s[20:21]                                   // 000000009258: BEFE0114
	global_atomic_add_f32 v6, v203, s[8:9] offset:8            // 00000000925C: DD348008 0008CB06
	global_atomic_add_f32 v6, v207, s[8:9] offset:264          // 000000009264: DD348108 0008CF06
	s_mov_b64 exec, s[36:37]                                   // 00000000926C: BEFE0124
	s_branch label_30AE                                        // 000000009270: BF82168E

0000000000009274 <label_1A20>:
	s_waitcnt vmcnt(2) lgkmcnt(0)                              // 000000009274: BF8C0072
	s_barrier                                                  // 000000009278: BF8A0000
	v_mfma_i32_16x16x32_i8 v[80:83], a[128:129], a[0:1], v[80:83]// 00000000927C: D3D70050 1D420180
	buffer_load_dwordx4 a[144:147], v76, s[84:87], 0 offen     // 000000009284: E05C1000 8095904C
	v_mfma_i32_16x16x32_i8 v[80:83], a[130:131], a[2:3], v[80:83]// 00000000928C: D3D70050 1D420582
	v_mfma_i32_16x16x32_i8 v[80:83], a[132:133], a[4:5], v[80:83]// 000000009294: D3D70050 1D420984
	v_mfma_i32_16x16x32_i8 v[80:83], a[134:135], a[6:7], v[80:83]// 00000000929C: D3D70050 1D420D86
	v_mfma_i32_16x16x32_i8 v[84:87], a[128:129], a[8:9], v[84:87]// 0000000092A4: D3D70054 1D521180
	buffer_load_dwordx4 a[148:151], v76, s[84:87], 0 offen offset:1024// 0000000092AC: E05C1400 8095944C
	v_mfma_i32_16x16x32_i8 v[84:87], a[130:131], a[10:11], v[84:87]// 0000000092B4: D3D70054 1D521582
	v_mfma_i32_16x16x32_i8 v[84:87], a[132:133], a[12:13], v[84:87]// 0000000092BC: D3D70054 1D521984
	v_mfma_i32_16x16x32_i8 v[84:87], a[134:135], a[14:15], v[84:87]// 0000000092C4: D3D70054 1D521D86
	v_mfma_i32_16x16x32_i8 v[88:91], a[128:129], a[16:17], v[88:91]// 0000000092CC: D3D70058 1D622180
	buffer_load_dwordx4 a[152:155], v77, s[84:87], 0 offen     // 0000000092D4: E05C1000 8095984D
	v_mfma_i32_16x16x32_i8 v[88:91], a[130:131], a[18:19], v[88:91]// 0000000092DC: D3D70058 1D622582
	v_mfma_i32_16x16x32_i8 v[88:91], a[132:133], a[20:21], v[88:91]// 0000000092E4: D3D70058 1D622984
	v_mfma_i32_16x16x32_i8 v[88:91], a[134:135], a[22:23], v[88:91]// 0000000092EC: D3D70058 1D622D86
	v_mfma_i32_16x16x32_i8 v[92:95], a[128:129], a[24:25], v[92:95]// 0000000092F4: D3D7005C 1D723180
	buffer_load_dwordx4 a[156:159], v77, s[84:87], 0 offen offset:1024// 0000000092FC: E05C1400 80959C4D
	buffer_load_dword v60, s[20:23], 0 offen lds               // 000000009304: E0511000 8005003C
	s_add_u32 m0, 0x100, s48                                   // 00000000930C: 807C30FF 00000100
	v_mfma_i32_16x16x32_i8 v[92:95], a[130:131], a[26:27], v[92:95]// 000000009314: D3D7005C 1D723582
	v_mfma_i32_16x16x32_i8 v[92:95], a[132:133], a[28:29], v[92:95]// 00000000931C: D3D7005C 1D723984
	buffer_load_dword v61, s[20:23], 0 offen lds               // 000000009324: E0511000 8005003D
	s_add_u32 m0, 0x200, s48                                   // 00000000932C: 807C30FF 00000200
	v_mfma_i32_16x16x32_i8 v[92:95], a[134:135], a[30:31], v[92:95]// 000000009334: D3D7005C 1D723D86
	v_mfma_i32_16x16x32_i8 v[96:99], a[128:129], a[32:33], v[96:99]// 00000000933C: D3D70060 1D824180
	v_mfma_i32_16x16x32_i8 v[96:99], a[130:131], a[34:35], v[96:99]// 000000009344: D3D70060 1D824582
	v_mfma_i32_16x16x32_i8 v[96:99], a[132:133], a[36:37], v[96:99]// 00000000934C: D3D70060 1D824984
	v_mfma_i32_16x16x32_i8 v[96:99], a[134:135], a[38:39], v[96:99]// 000000009354: D3D70060 1D824D86
	v_mfma_i32_16x16x32_i8 v[100:103], a[128:129], a[40:41], v[100:103]// 00000000935C: D3D70064 1D925180
	buffer_load_dword v62, s[20:23], 0 offen lds               // 000000009364: E0511000 8005003E
	s_add_u32 m0, 0x300, s48                                   // 00000000936C: 807C30FF 00000300
	v_mfma_i32_16x16x32_i8 v[100:103], a[130:131], a[42:43], v[100:103]// 000000009374: D3D70064 1D925582
	v_mfma_i32_16x16x32_i8 v[100:103], a[132:133], a[44:45], v[100:103]// 00000000937C: D3D70064 1D925984
	buffer_load_dword v63, s[20:23], 0 offen lds               // 000000009384: E0511000 8005003F
	s_add_u32 m0, 0x400, s48                                   // 00000000938C: 807C30FF 00000400
	v_mfma_i32_16x16x32_i8 v[100:103], a[134:135], a[46:47], v[100:103]// 000000009394: D3D70064 1D925D86
	v_mfma_i32_16x16x32_i8 v[104:107], a[128:129], a[48:49], v[104:107]// 00000000939C: D3D70068 1DA26180
	v_mfma_i32_16x16x32_i8 v[104:107], a[130:131], a[50:51], v[104:107]// 0000000093A4: D3D70068 1DA26582
	v_mfma_i32_16x16x32_i8 v[104:107], a[132:133], a[52:53], v[104:107]// 0000000093AC: D3D70068 1DA26984
	v_mfma_i32_16x16x32_i8 v[104:107], a[134:135], a[54:55], v[104:107]// 0000000093B4: D3D70068 1DA26D86
	v_mfma_i32_16x16x32_i8 v[108:111], a[128:129], a[56:57], v[108:111]// 0000000093BC: D3D7006C 1DB27180
	buffer_load_dword v64, s[20:23], 0 offen lds               // 0000000093C4: E0511000 80050040
	s_add_u32 m0, 0x500, s48                                   // 0000000093CC: 807C30FF 00000500
	v_mfma_i32_16x16x32_i8 v[108:111], a[130:131], a[58:59], v[108:111]// 0000000093D4: D3D7006C 1DB27582
	v_mfma_i32_16x16x32_i8 v[108:111], a[132:133], a[60:61], v[108:111]// 0000000093DC: D3D7006C 1DB27984
	buffer_load_dword v65, s[20:23], 0 offen lds               // 0000000093E4: E0511000 80050041
	s_add_u32 m0, 0x600, s48                                   // 0000000093EC: 807C30FF 00000600
	v_mfma_i32_16x16x32_i8 v[108:111], a[134:135], a[62:63], v[108:111]// 0000000093F4: D3D7006C 1DB27D86
	s_waitcnt vmcnt(10)                                        // 0000000093FC: BF8C0F7A
	v_mfma_i32_16x16x32_i8 v[112:115], a[136:137], a[0:1], v[112:115]// 000000009400: D3D70070 1DC20188
	buffer_load_dword v66, s[20:23], 0 offen lds               // 000000009408: E0511000 80050042
	s_add_u32 m0, 0x700, s48                                   // 000000009410: 807C30FF 00000700
	v_mfma_i32_16x16x32_i8 v[112:115], a[138:139], a[2:3], v[112:115]// 000000009418: D3D70070 1DC2058A
	v_mfma_i32_16x16x32_i8 v[112:115], a[140:141], a[4:5], v[112:115]// 000000009420: D3D70070 1DC2098C
	buffer_load_dword v67, s[20:23], 0 offen lds               // 000000009428: E0511000 80050043
	s_add_u32 m0, 0x800, s48                                   // 000000009430: 807C30FF 00000800
	v_mfma_i32_16x16x32_i8 v[112:115], a[142:143], a[6:7], v[112:115]// 000000009438: D3D70070 1DC20D8E
	v_mfma_i32_16x16x32_i8 v[116:119], a[136:137], a[8:9], v[116:119]// 000000009440: D3D70074 1DD21188
	buffer_load_dword v68, s[20:23], 0 offen lds               // 000000009448: E0511000 80050044
	s_add_u32 m0, 0x900, s48                                   // 000000009450: 807C30FF 00000900
	v_mfma_i32_16x16x32_i8 v[116:119], a[138:139], a[10:11], v[116:119]// 000000009458: D3D70074 1DD2158A
	v_mfma_i32_16x16x32_i8 v[116:119], a[140:141], a[12:13], v[116:119]// 000000009460: D3D70074 1DD2198C
	buffer_load_dword v69, s[20:23], 0 offen lds               // 000000009468: E0511000 80050045
	s_add_u32 m0, 0xa00, s48                                   // 000000009470: 807C30FF 00000A00
	v_mfma_i32_16x16x32_i8 v[116:119], a[142:143], a[14:15], v[116:119]// 000000009478: D3D70074 1DD21D8E
	v_mfma_i32_16x16x32_i8 v[120:123], a[136:137], a[16:17], v[120:123]// 000000009480: D3D70078 1DE22188
	buffer_load_dword v70, s[20:23], 0 offen lds               // 000000009488: E0511000 80050046
	s_add_u32 m0, 0xb00, s48                                   // 000000009490: 807C30FF 00000B00
	v_mfma_i32_16x16x32_i8 v[120:123], a[138:139], a[18:19], v[120:123]// 000000009498: D3D70078 1DE2258A
	v_mfma_i32_16x16x32_i8 v[120:123], a[140:141], a[20:21], v[120:123]// 0000000094A0: D3D70078 1DE2298C
	buffer_load_dword v71, s[20:23], 0 offen lds               // 0000000094A8: E0511000 80050047
	s_add_u32 m0, 0xc00, s48                                   // 0000000094B0: 807C30FF 00000C00
	v_mfma_i32_16x16x32_i8 v[120:123], a[142:143], a[22:23], v[120:123]// 0000000094B8: D3D70078 1DE22D8E
	v_mfma_i32_16x16x32_i8 v[124:127], a[136:137], a[24:25], v[124:127]// 0000000094C0: D3D7007C 1DF23188
	buffer_load_dword v72, s[20:23], 0 offen lds               // 0000000094C8: E0511000 80050048
	s_add_u32 m0, 0xd00, s48                                   // 0000000094D0: 807C30FF 00000D00
	v_mfma_i32_16x16x32_i8 v[124:127], a[138:139], a[26:27], v[124:127]// 0000000094D8: D3D7007C 1DF2358A
	v_mfma_i32_16x16x32_i8 v[124:127], a[140:141], a[28:29], v[124:127]// 0000000094E0: D3D7007C 1DF2398C
	buffer_load_dword v73, s[20:23], 0 offen lds               // 0000000094E8: E0511000 80050049
	s_add_u32 m0, 0xe00, s48                                   // 0000000094F0: 807C30FF 00000E00
	v_mfma_i32_16x16x32_i8 v[124:127], a[142:143], a[30:31], v[124:127]// 0000000094F8: D3D7007C 1DF23D8E
	v_mfma_i32_16x16x32_i8 v[128:131], a[136:137], a[32:33], v[128:131]// 000000009500: D3D70080 1E024188
	v_mfma_i32_16x16x32_i8 v[128:131], a[138:139], a[34:35], v[128:131]// 000000009508: D3D70080 1E02458A
	v_mfma_i32_16x16x32_i8 v[128:131], a[140:141], a[36:37], v[128:131]// 000000009510: D3D70080 1E02498C
	v_mfma_i32_16x16x32_i8 v[128:131], a[142:143], a[38:39], v[128:131]// 000000009518: D3D70080 1E024D8E
	v_mfma_i32_16x16x32_i8 v[132:135], a[136:137], a[40:41], v[132:135]// 000000009520: D3D70084 1E125188
	buffer_load_dword v74, s[20:23], 0 offen lds               // 000000009528: E0511000 8005004A
	s_add_u32 m0, 0xf00, s48                                   // 000000009530: 807C30FF 00000F00
	v_mfma_i32_16x16x32_i8 v[132:135], a[138:139], a[42:43], v[132:135]// 000000009538: D3D70084 1E12558A
	v_mfma_i32_16x16x32_i8 v[132:135], a[140:141], a[44:45], v[132:135]// 000000009540: D3D70084 1E12598C
	buffer_load_dword v75, s[20:23], 0 offen lds               // 000000009548: E0511000 8005004B
	s_add_u32 m0, 0, s49                                       // 000000009550: 807C3180
	v_mfma_i32_16x16x32_i8 v[132:135], a[142:143], a[46:47], v[132:135]// 000000009554: D3D70084 1E125D8E
	v_mfma_i32_16x16x32_i8 v[136:139], a[136:137], a[48:49], v[136:139]// 00000000955C: D3D70088 1E226188
	v_mfma_i32_16x16x32_i8 v[136:139], a[138:139], a[50:51], v[136:139]// 000000009564: D3D70088 1E22658A
	v_mfma_i32_16x16x32_i8 v[136:139], a[140:141], a[52:53], v[136:139]// 00000000956C: D3D70088 1E22698C
	v_mfma_i32_16x16x32_i8 v[136:139], a[142:143], a[54:55], v[136:139]// 000000009574: D3D70088 1E226D8E
	v_mfma_i32_16x16x32_i8 v[140:143], a[136:137], a[56:57], v[140:143]// 00000000957C: D3D7008C 1E327188
	v_mfma_i32_16x16x32_i8 v[140:143], a[138:139], a[58:59], v[140:143]// 000000009584: D3D7008C 1E32758A
	s_add_u32 s60, 0x80, s80                                   // 00000000958C: 803C50FF 00000080
	s_cmp_lt_u32 s60, s81                                      // 000000009594: BF0A513C
	s_cselect_b32 s83, s83, 0                                  // 000000009598: 85538053
	v_mfma_i32_16x16x32_i8 v[140:143], a[140:141], a[60:61], v[140:143]// 00000000959C: D3D7008C 1E32798C
	v_mfma_i32_16x16x32_i8 v[140:143], a[142:143], a[62:63], v[140:143]// 0000000095A4: D3D7008C 1E327D8E
	s_waitcnt vmcnt(16)                                        // 0000000095AC: BF8C4F70
	v_mfma_i32_16x16x32_i8 v[144:147], a[144:145], a[0:1], v[144:147]// 0000000095B0: D3D70090 1E420190
	buffer_load_dwordx4 a[128:131], v76, s[24:27], 0 offen     // 0000000095B8: E05C1000 8086804C
	v_mfma_i32_16x16x32_i8 v[144:147], a[146:147], a[2:3], v[144:147]// 0000000095C0: D3D70090 1E420592
	v_mfma_i32_16x16x32_i8 v[144:147], a[148:149], a[4:5], v[144:147]// 0000000095C8: D3D70090 1E420994
	ds_read_b128 a[64:67], v2 offset:16512                     // 0000000095D0: DBFE4080 40000002
	ds_read_b128 a[68:71], v2 offset:16576                     // 0000000095D8: DBFE40C0 44000002
	v_mfma_i32_16x16x32_i8 v[144:147], a[150:151], a[6:7], v[144:147]// 0000000095E0: D3D70090 1E420D96
	v_mfma_i32_16x16x32_i8 v[176:179], a[152:153], a[0:1], v[176:179]// 0000000095E8: D3D700B0 1EC20198
	buffer_load_dwordx4 a[132:135], v76, s[24:27], 0 offen offset:1024// 0000000095F0: E05C1400 8086844C
	v_mfma_i32_16x16x32_i8 v[176:179], a[154:155], a[2:3], v[176:179]// 0000000095F8: D3D700B0 1EC2059A
	v_mfma_i32_16x16x32_i8 v[176:179], a[156:157], a[4:5], v[176:179]// 000000009600: D3D700B0 1EC2099C
	ds_read_b128 a[72:75], v2 offset:17024                     // 000000009608: DBFE4280 48000002
	ds_read_b128 a[76:79], v2 offset:17088                     // 000000009610: DBFE42C0 4C000002
	v_mfma_i32_16x16x32_i8 v[176:179], a[158:159], a[6:7], v[176:179]// 000000009618: D3D700B0 1EC20D9E
	v_mfma_i32_16x16x32_i8 v[148:151], a[144:145], a[8:9], v[148:151]// 000000009620: D3D70094 1E521190
	buffer_load_dwordx4 a[136:139], v77, s[24:27], 0 offen     // 000000009628: E05C1000 8086884D
	v_mfma_i32_16x16x32_i8 v[148:151], a[146:147], a[10:11], v[148:151]// 000000009630: D3D70094 1E521592
	v_mfma_i32_16x16x32_i8 v[148:151], a[148:149], a[12:13], v[148:151]// 000000009638: D3D70094 1E521994
	ds_read_b128 a[80:83], v2 offset:17536                     // 000000009640: DBFE4480 50000002
	ds_read_b128 a[84:87], v2 offset:17600                     // 000000009648: DBFE44C0 54000002
	v_mfma_i32_16x16x32_i8 v[148:151], a[150:151], a[14:15], v[148:151]// 000000009650: D3D70094 1E521D96
	v_mfma_i32_16x16x32_i8 v[180:183], a[152:153], a[8:9], v[180:183]// 000000009658: D3D700B4 1ED21198
	buffer_load_dwordx4 a[140:143], v77, s[24:27], 0 offen offset:1024// 000000009660: E05C1400 80868C4D
	v_mfma_i32_16x16x32_i8 v[180:183], a[154:155], a[10:11], v[180:183]// 000000009668: D3D700B4 1ED2159A
	v_mfma_i32_16x16x32_i8 v[180:183], a[156:157], a[12:13], v[180:183]// 000000009670: D3D700B4 1ED2199C
	ds_read_b128 a[88:91], v2 offset:18048                     // 000000009678: DBFE4680 58000002
	ds_read_b128 a[92:95], v2 offset:18112                     // 000000009680: DBFE46C0 5C000002
	v_mfma_i32_16x16x32_i8 v[180:183], a[158:159], a[14:15], v[180:183]// 000000009688: D3D700B4 1ED21D9E
	v_mfma_i32_16x16x32_i8 v[152:155], a[144:145], a[16:17], v[152:155]// 000000009690: D3D70098 1E622190
	v_mfma_i32_16x16x32_i8 v[152:155], a[146:147], a[18:19], v[152:155]// 000000009698: D3D70098 1E622592
	v_mfma_i32_16x16x32_i8 v[152:155], a[148:149], a[20:21], v[152:155]// 0000000096A0: D3D70098 1E622994
	ds_read_b128 a[96:99], v2 offset:18560                     // 0000000096A8: DBFE4880 60000002
	ds_read_b128 a[100:103], v2 offset:18624                   // 0000000096B0: DBFE48C0 64000002
	v_mfma_i32_16x16x32_i8 v[152:155], a[150:151], a[22:23], v[152:155]// 0000000096B8: D3D70098 1E622D96
	v_mfma_i32_16x16x32_i8 v[184:187], a[152:153], a[16:17], v[184:187]// 0000000096C0: D3D700B8 1EE22198
	v_mfma_i32_16x16x32_i8 v[184:187], a[154:155], a[18:19], v[184:187]// 0000000096C8: D3D700B8 1EE2259A
	v_mfma_i32_16x16x32_i8 v[184:187], a[156:157], a[20:21], v[184:187]// 0000000096D0: D3D700B8 1EE2299C
	ds_read_b128 a[104:107], v2 offset:19072                   // 0000000096D8: DBFE4A80 68000002
	ds_read_b128 a[108:111], v2 offset:19136                   // 0000000096E0: DBFE4AC0 6C000002
	v_mfma_i32_16x16x32_i8 v[184:187], a[158:159], a[22:23], v[184:187]// 0000000096E8: D3D700B8 1EE22D9E
	v_mfma_i32_16x16x32_i8 v[156:159], a[144:145], a[24:25], v[156:159]// 0000000096F0: D3D7009C 1E723190
	v_mfma_i32_16x16x32_i8 v[156:159], a[146:147], a[26:27], v[156:159]// 0000000096F8: D3D7009C 1E723592
	v_mfma_i32_16x16x32_i8 v[156:159], a[148:149], a[28:29], v[156:159]// 000000009700: D3D7009C 1E723994
	ds_read_b128 a[112:115], v2 offset:19584                   // 000000009708: DBFE4C80 70000002
	ds_read_b128 a[116:119], v2 offset:19648                   // 000000009710: DBFE4CC0 74000002
	v_mfma_i32_16x16x32_i8 v[156:159], a[150:151], a[30:31], v[156:159]// 000000009718: D3D7009C 1E723D96
	v_mfma_i32_16x16x32_i8 v[188:191], a[152:153], a[24:25], v[188:191]// 000000009720: D3D700BC 1EF23198
	v_mfma_i32_16x16x32_i8 v[188:191], a[154:155], a[26:27], v[188:191]// 000000009728: D3D700BC 1EF2359A
	v_mfma_i32_16x16x32_i8 v[188:191], a[156:157], a[28:29], v[188:191]// 000000009730: D3D700BC 1EF2399C
	ds_read_b128 a[120:123], v2 offset:20096                   // 000000009738: DBFE4E80 78000002
	ds_read_b128 a[124:127], v2 offset:20160                   // 000000009740: DBFE4EC0 7C000002
	v_mfma_i32_16x16x32_i8 v[188:191], a[158:159], a[30:31], v[188:191]// 000000009748: D3D700BC 1EF23D9E
	v_mfma_i32_16x16x32_i8 v[160:163], a[144:145], a[32:33], v[160:163]// 000000009750: D3D700A0 1E824190
	v_mfma_i32_16x16x32_i8 v[160:163], a[146:147], a[34:35], v[160:163]// 000000009758: D3D700A0 1E824592
	v_mfma_i32_16x16x32_i8 v[160:163], a[148:149], a[36:37], v[160:163]// 000000009760: D3D700A0 1E824994
	v_mfma_i32_16x16x32_i8 v[160:163], a[150:151], a[38:39], v[160:163]// 000000009768: D3D700A0 1E824D96
	v_mfma_i32_16x16x32_i8 v[192:195], a[152:153], a[32:33], v[192:195]// 000000009770: D3D700C0 1F024198
	v_mfma_i32_16x16x32_i8 v[192:195], a[154:155], a[34:35], v[192:195]// 000000009778: D3D700C0 1F02459A
	v_mfma_i32_16x16x32_i8 v[192:195], a[156:157], a[36:37], v[192:195]// 000000009780: D3D700C0 1F02499C
	v_mfma_i32_16x16x32_i8 v[192:195], a[158:159], a[38:39], v[192:195]// 000000009788: D3D700C0 1F024D9E
	v_mfma_i32_16x16x32_i8 v[164:167], a[144:145], a[40:41], v[164:167]// 000000009790: D3D700A4 1E925190
	v_mfma_i32_16x16x32_i8 v[164:167], a[146:147], a[42:43], v[164:167]// 000000009798: D3D700A4 1E925592
	v_mfma_i32_16x16x32_i8 v[164:167], a[148:149], a[44:45], v[164:167]// 0000000097A0: D3D700A4 1E925994
	v_mfma_i32_16x16x32_i8 v[164:167], a[150:151], a[46:47], v[164:167]// 0000000097A8: D3D700A4 1E925D96
	v_mfma_i32_16x16x32_i8 v[196:199], a[152:153], a[40:41], v[196:199]// 0000000097B0: D3D700C4 1F125198
	v_mfma_i32_16x16x32_i8 v[196:199], a[154:155], a[42:43], v[196:199]// 0000000097B8: D3D700C4 1F12559A
	v_mfma_i32_16x16x32_i8 v[196:199], a[156:157], a[44:45], v[196:199]// 0000000097C0: D3D700C4 1F12599C
	v_mfma_i32_16x16x32_i8 v[196:199], a[158:159], a[46:47], v[196:199]// 0000000097C8: D3D700C4 1F125D9E
	v_mfma_i32_16x16x32_i8 v[168:171], a[144:145], a[48:49], v[168:171]// 0000000097D0: D3D700A8 1EA26190
	v_mfma_i32_16x16x32_i8 v[168:171], a[146:147], a[50:51], v[168:171]// 0000000097D8: D3D700A8 1EA26592
	v_mfma_i32_16x16x32_i8 v[168:171], a[148:149], a[52:53], v[168:171]// 0000000097E0: D3D700A8 1EA26994
	v_mfma_i32_16x16x32_i8 v[168:171], a[150:151], a[54:55], v[168:171]// 0000000097E8: D3D700A8 1EA26D96
	v_mfma_i32_16x16x32_i8 v[200:203], a[152:153], a[48:49], v[200:203]// 0000000097F0: D3D700C8 1F226198
	v_mfma_i32_16x16x32_i8 v[200:203], a[154:155], a[50:51], v[200:203]// 0000000097F8: D3D700C8 1F22659A
	v_mfma_i32_16x16x32_i8 v[200:203], a[156:157], a[52:53], v[200:203]// 000000009800: D3D700C8 1F22699C
	v_mfma_i32_16x16x32_i8 v[200:203], a[158:159], a[54:55], v[200:203]// 000000009808: D3D700C8 1F226D9E
	v_mfma_i32_16x16x32_i8 v[172:175], a[144:145], a[56:57], v[172:175]// 000000009810: D3D700AC 1EB27190
	v_mfma_i32_16x16x32_i8 v[172:175], a[146:147], a[58:59], v[172:175]// 000000009818: D3D700AC 1EB27592
	v_mfma_i32_16x16x32_i8 v[172:175], a[148:149], a[60:61], v[172:175]// 000000009820: D3D700AC 1EB27994
	s_add_u32 s60, 0x180, s80                                  // 000000009828: 803C50FF 00000180
	s_cmp_lt_u32 s60, s81                                      // 000000009830: BF0A513C
	s_cselect_b32 s57, s57, 0                                  // 000000009834: 85398039
	v_mfma_i32_16x16x32_i8 v[172:175], a[150:151], a[62:63], v[172:175]// 000000009838: D3D700AC 1EB27D96
	s_add_u32 s60, 0x100, s80                                  // 000000009840: 803C50FF 00000100
	s_cmp_lt_u32 s60, s81                                      // 000000009848: BF0A513C
	s_cselect_b32 s58, s58, 0                                  // 00000000984C: 853A803A
	v_mfma_i32_16x16x32_i8 v[204:207], a[152:153], a[56:57], v[204:207]// 000000009850: D3D700CC 1F327198
	s_add_u32 s24, s58, s24                                    // 000000009858: 8018183A
	s_addc_u32 s25, 0, s25                                     // 00000000985C: 82191980
	v_mfma_i32_16x16x32_i8 v[204:207], a[154:155], a[58:59], v[204:207]// 000000009860: D3D700CC 1F32759A
	s_add_u32 s20, s57, s20                                    // 000000009868: 80141439
	s_addc_u32 s21, 0, s21                                     // 00000000986C: 82151580
	v_mfma_i32_16x16x32_i8 v[204:207], a[156:157], a[60:61], v[204:207]// 000000009870: D3D700CC 1F32799C
	s_add_u32 s84, s83, s84                                    // 000000009878: 80545453
	s_addc_u32 s85, 0, s85                                     // 00000000987C: 82555580
	v_mfma_i32_16x16x32_i8 v[204:207], a[158:159], a[62:63], v[204:207]// 000000009880: D3D700CC 1F327D9E
	s_addk_i32 s80, 0x80                                       // 000000009888: B7500080
	s_cmp_lt_i32 s80, s81                                      // 00000000988C: BF045150
	s_cbranch_scc0 label_1D31                                  // 000000009890: BF840189
	s_waitcnt vmcnt(2) lgkmcnt(0)                              // 000000009894: BF8C0072
	s_barrier                                                  // 000000009898: BF8A0000
	v_mfma_i32_16x16x32_i8 v[80:83], a[128:129], a[64:65], v[80:83]// 00000000989C: D3D70050 1D428180
	buffer_load_dwordx4 a[144:147], v76, s[84:87], 0 offen     // 0000000098A4: E05C1000 8095904C
	v_mfma_i32_16x16x32_i8 v[80:83], a[130:131], a[66:67], v[80:83]// 0000000098AC: D3D70050 1D428582
	v_mfma_i32_16x16x32_i8 v[80:83], a[132:133], a[68:69], v[80:83]// 0000000098B4: D3D70050 1D428984
	v_mfma_i32_16x16x32_i8 v[80:83], a[134:135], a[70:71], v[80:83]// 0000000098BC: D3D70050 1D428D86
	v_mfma_i32_16x16x32_i8 v[84:87], a[128:129], a[72:73], v[84:87]// 0000000098C4: D3D70054 1D529180
	buffer_load_dwordx4 a[148:151], v76, s[84:87], 0 offen offset:1024// 0000000098CC: E05C1400 8095944C
	v_mfma_i32_16x16x32_i8 v[84:87], a[130:131], a[74:75], v[84:87]// 0000000098D4: D3D70054 1D529582
	v_mfma_i32_16x16x32_i8 v[84:87], a[132:133], a[76:77], v[84:87]// 0000000098DC: D3D70054 1D529984
	v_mfma_i32_16x16x32_i8 v[84:87], a[134:135], a[78:79], v[84:87]// 0000000098E4: D3D70054 1D529D86
	v_mfma_i32_16x16x32_i8 v[88:91], a[128:129], a[80:81], v[88:91]// 0000000098EC: D3D70058 1D62A180
	buffer_load_dwordx4 a[152:155], v77, s[84:87], 0 offen     // 0000000098F4: E05C1000 8095984D
	v_mfma_i32_16x16x32_i8 v[88:91], a[130:131], a[82:83], v[88:91]// 0000000098FC: D3D70058 1D62A582
	v_mfma_i32_16x16x32_i8 v[88:91], a[132:133], a[84:85], v[88:91]// 000000009904: D3D70058 1D62A984
	v_mfma_i32_16x16x32_i8 v[88:91], a[134:135], a[86:87], v[88:91]// 00000000990C: D3D70058 1D62AD86
	v_mfma_i32_16x16x32_i8 v[92:95], a[128:129], a[88:89], v[92:95]// 000000009914: D3D7005C 1D72B180
	buffer_load_dwordx4 a[156:159], v77, s[84:87], 0 offen offset:1024// 00000000991C: E05C1400 80959C4D
	buffer_load_dword v60, s[20:23], 0 offen lds               // 000000009924: E0511000 8005003C
	s_add_u32 m0, 0x100, s49                                   // 00000000992C: 807C31FF 00000100
	v_mfma_i32_16x16x32_i8 v[92:95], a[130:131], a[90:91], v[92:95]// 000000009934: D3D7005C 1D72B582
	v_mfma_i32_16x16x32_i8 v[92:95], a[132:133], a[92:93], v[92:95]// 00000000993C: D3D7005C 1D72B984
	buffer_load_dword v61, s[20:23], 0 offen lds               // 000000009944: E0511000 8005003D
	s_add_u32 m0, 0x200, s49                                   // 00000000994C: 807C31FF 00000200
	v_mfma_i32_16x16x32_i8 v[92:95], a[134:135], a[94:95], v[92:95]// 000000009954: D3D7005C 1D72BD86
	v_mfma_i32_16x16x32_i8 v[96:99], a[128:129], a[96:97], v[96:99]// 00000000995C: D3D70060 1D82C180
	v_mfma_i32_16x16x32_i8 v[96:99], a[130:131], a[98:99], v[96:99]// 000000009964: D3D70060 1D82C582
	v_mfma_i32_16x16x32_i8 v[96:99], a[132:133], a[100:101], v[96:99]// 00000000996C: D3D70060 1D82C984
	v_mfma_i32_16x16x32_i8 v[96:99], a[134:135], a[102:103], v[96:99]// 000000009974: D3D70060 1D82CD86
	v_mfma_i32_16x16x32_i8 v[100:103], a[128:129], a[104:105], v[100:103]// 00000000997C: D3D70064 1D92D180
	buffer_load_dword v62, s[20:23], 0 offen lds               // 000000009984: E0511000 8005003E
	s_add_u32 m0, 0x300, s49                                   // 00000000998C: 807C31FF 00000300
	v_mfma_i32_16x16x32_i8 v[100:103], a[130:131], a[106:107], v[100:103]// 000000009994: D3D70064 1D92D582
	v_mfma_i32_16x16x32_i8 v[100:103], a[132:133], a[108:109], v[100:103]// 00000000999C: D3D70064 1D92D984
	buffer_load_dword v63, s[20:23], 0 offen lds               // 0000000099A4: E0511000 8005003F
	s_add_u32 m0, 0x400, s49                                   // 0000000099AC: 807C31FF 00000400
	v_mfma_i32_16x16x32_i8 v[100:103], a[134:135], a[110:111], v[100:103]// 0000000099B4: D3D70064 1D92DD86
	v_mfma_i32_16x16x32_i8 v[104:107], a[128:129], a[112:113], v[104:107]// 0000000099BC: D3D70068 1DA2E180
	v_mfma_i32_16x16x32_i8 v[104:107], a[130:131], a[114:115], v[104:107]// 0000000099C4: D3D70068 1DA2E582
	v_mfma_i32_16x16x32_i8 v[104:107], a[132:133], a[116:117], v[104:107]// 0000000099CC: D3D70068 1DA2E984
	v_mfma_i32_16x16x32_i8 v[104:107], a[134:135], a[118:119], v[104:107]// 0000000099D4: D3D70068 1DA2ED86
	v_mfma_i32_16x16x32_i8 v[108:111], a[128:129], a[120:121], v[108:111]// 0000000099DC: D3D7006C 1DB2F180
	buffer_load_dword v64, s[20:23], 0 offen lds               // 0000000099E4: E0511000 80050040
	s_add_u32 m0, 0x500, s49                                   // 0000000099EC: 807C31FF 00000500
	v_mfma_i32_16x16x32_i8 v[108:111], a[130:131], a[122:123], v[108:111]// 0000000099F4: D3D7006C 1DB2F582
	v_mfma_i32_16x16x32_i8 v[108:111], a[132:133], a[124:125], v[108:111]// 0000000099FC: D3D7006C 1DB2F984
	buffer_load_dword v65, s[20:23], 0 offen lds               // 000000009A04: E0511000 80050041
	s_add_u32 m0, 0x600, s49                                   // 000000009A0C: 807C31FF 00000600
	v_mfma_i32_16x16x32_i8 v[108:111], a[134:135], a[126:127], v[108:111]// 000000009A14: D3D7006C 1DB2FD86
	s_waitcnt vmcnt(10)                                        // 000000009A1C: BF8C0F7A
	v_mfma_i32_16x16x32_i8 v[112:115], a[136:137], a[64:65], v[112:115]// 000000009A20: D3D70070 1DC28188
	buffer_load_dword v66, s[20:23], 0 offen lds               // 000000009A28: E0511000 80050042
	s_add_u32 m0, 0x700, s49                                   // 000000009A30: 807C31FF 00000700
	v_mfma_i32_16x16x32_i8 v[112:115], a[138:139], a[66:67], v[112:115]// 000000009A38: D3D70070 1DC2858A
	v_mfma_i32_16x16x32_i8 v[112:115], a[140:141], a[68:69], v[112:115]// 000000009A40: D3D70070 1DC2898C
	buffer_load_dword v67, s[20:23], 0 offen lds               // 000000009A48: E0511000 80050043
	s_add_u32 m0, 0x800, s49                                   // 000000009A50: 807C31FF 00000800
	v_mfma_i32_16x16x32_i8 v[112:115], a[142:143], a[70:71], v[112:115]// 000000009A58: D3D70070 1DC28D8E
	v_mfma_i32_16x16x32_i8 v[116:119], a[136:137], a[72:73], v[116:119]// 000000009A60: D3D70074 1DD29188
	buffer_load_dword v68, s[20:23], 0 offen lds               // 000000009A68: E0511000 80050044
	s_add_u32 m0, 0x900, s49                                   // 000000009A70: 807C31FF 00000900
	v_mfma_i32_16x16x32_i8 v[116:119], a[138:139], a[74:75], v[116:119]// 000000009A78: D3D70074 1DD2958A
	v_mfma_i32_16x16x32_i8 v[116:119], a[140:141], a[76:77], v[116:119]// 000000009A80: D3D70074 1DD2998C
	buffer_load_dword v69, s[20:23], 0 offen lds               // 000000009A88: E0511000 80050045
	s_add_u32 m0, 0xa00, s49                                   // 000000009A90: 807C31FF 00000A00
	v_mfma_i32_16x16x32_i8 v[116:119], a[142:143], a[78:79], v[116:119]// 000000009A98: D3D70074 1DD29D8E
	v_mfma_i32_16x16x32_i8 v[120:123], a[136:137], a[80:81], v[120:123]// 000000009AA0: D3D70078 1DE2A188
	buffer_load_dword v70, s[20:23], 0 offen lds               // 000000009AA8: E0511000 80050046
	s_add_u32 m0, 0xb00, s49                                   // 000000009AB0: 807C31FF 00000B00
	v_mfma_i32_16x16x32_i8 v[120:123], a[138:139], a[82:83], v[120:123]// 000000009AB8: D3D70078 1DE2A58A
	v_mfma_i32_16x16x32_i8 v[120:123], a[140:141], a[84:85], v[120:123]// 000000009AC0: D3D70078 1DE2A98C
	buffer_load_dword v71, s[20:23], 0 offen lds               // 000000009AC8: E0511000 80050047
	s_add_u32 m0, 0xc00, s49                                   // 000000009AD0: 807C31FF 00000C00
	v_mfma_i32_16x16x32_i8 v[120:123], a[142:143], a[86:87], v[120:123]// 000000009AD8: D3D70078 1DE2AD8E
	v_mfma_i32_16x16x32_i8 v[124:127], a[136:137], a[88:89], v[124:127]// 000000009AE0: D3D7007C 1DF2B188
	buffer_load_dword v72, s[20:23], 0 offen lds               // 000000009AE8: E0511000 80050048
	s_add_u32 m0, 0xd00, s49                                   // 000000009AF0: 807C31FF 00000D00
	v_mfma_i32_16x16x32_i8 v[124:127], a[138:139], a[90:91], v[124:127]// 000000009AF8: D3D7007C 1DF2B58A
	v_mfma_i32_16x16x32_i8 v[124:127], a[140:141], a[92:93], v[124:127]// 000000009B00: D3D7007C 1DF2B98C
	buffer_load_dword v73, s[20:23], 0 offen lds               // 000000009B08: E0511000 80050049
	s_add_u32 m0, 0xe00, s49                                   // 000000009B10: 807C31FF 00000E00
	v_mfma_i32_16x16x32_i8 v[124:127], a[142:143], a[94:95], v[124:127]// 000000009B18: D3D7007C 1DF2BD8E
	v_mfma_i32_16x16x32_i8 v[128:131], a[136:137], a[96:97], v[128:131]// 000000009B20: D3D70080 1E02C188
	v_mfma_i32_16x16x32_i8 v[128:131], a[138:139], a[98:99], v[128:131]// 000000009B28: D3D70080 1E02C58A
	v_mfma_i32_16x16x32_i8 v[128:131], a[140:141], a[100:101], v[128:131]// 000000009B30: D3D70080 1E02C98C
	v_mfma_i32_16x16x32_i8 v[128:131], a[142:143], a[102:103], v[128:131]// 000000009B38: D3D70080 1E02CD8E
	v_mfma_i32_16x16x32_i8 v[132:135], a[136:137], a[104:105], v[132:135]// 000000009B40: D3D70084 1E12D188
	buffer_load_dword v74, s[20:23], 0 offen lds               // 000000009B48: E0511000 8005004A
	s_add_u32 m0, 0xf00, s49                                   // 000000009B50: 807C31FF 00000F00
	v_mfma_i32_16x16x32_i8 v[132:135], a[138:139], a[106:107], v[132:135]// 000000009B58: D3D70084 1E12D58A
	v_mfma_i32_16x16x32_i8 v[132:135], a[140:141], a[108:109], v[132:135]// 000000009B60: D3D70084 1E12D98C
	buffer_load_dword v75, s[20:23], 0 offen lds               // 000000009B68: E0511000 8005004B
	s_add_u32 m0, 0, s48                                       // 000000009B70: 807C3080
	v_mfma_i32_16x16x32_i8 v[132:135], a[142:143], a[110:111], v[132:135]// 000000009B74: D3D70084 1E12DD8E
	v_mfma_i32_16x16x32_i8 v[136:139], a[136:137], a[112:113], v[136:139]// 000000009B7C: D3D70088 1E22E188
	v_mfma_i32_16x16x32_i8 v[136:139], a[138:139], a[114:115], v[136:139]// 000000009B84: D3D70088 1E22E58A
	v_mfma_i32_16x16x32_i8 v[136:139], a[140:141], a[116:117], v[136:139]// 000000009B8C: D3D70088 1E22E98C
	v_mfma_i32_16x16x32_i8 v[136:139], a[142:143], a[118:119], v[136:139]// 000000009B94: D3D70088 1E22ED8E
	v_mfma_i32_16x16x32_i8 v[140:143], a[136:137], a[120:121], v[140:143]// 000000009B9C: D3D7008C 1E32F188
	v_mfma_i32_16x16x32_i8 v[140:143], a[138:139], a[122:123], v[140:143]// 000000009BA4: D3D7008C 1E32F58A
	s_add_u32 s60, 0x80, s80                                   // 000000009BAC: 803C50FF 00000080
	s_cmp_lt_u32 s60, s81                                      // 000000009BB4: BF0A513C
	s_cselect_b32 s83, s83, 0                                  // 000000009BB8: 85538053
	v_mfma_i32_16x16x32_i8 v[140:143], a[140:141], a[124:125], v[140:143]// 000000009BBC: D3D7008C 1E32F98C
	v_mfma_i32_16x16x32_i8 v[140:143], a[142:143], a[126:127], v[140:143]// 000000009BC4: D3D7008C 1E32FD8E
	s_waitcnt vmcnt(16)                                        // 000000009BCC: BF8C4F70
	v_mfma_i32_16x16x32_i8 v[144:147], a[144:145], a[64:65], v[144:147]// 000000009BD0: D3D70090 1E428190
	buffer_load_dwordx4 a[128:131], v76, s[24:27], 0 offen     // 000000009BD8: E05C1000 8086804C
	v_mfma_i32_16x16x32_i8 v[144:147], a[146:147], a[66:67], v[144:147]// 000000009BE0: D3D70090 1E428592
	v_mfma_i32_16x16x32_i8 v[144:147], a[148:149], a[68:69], v[144:147]// 000000009BE8: D3D70090 1E428994
	ds_read_b128 a[0:3], v2                                    // 000000009BF0: DBFE0000 00000002
	ds_read_b128 a[4:7], v2 offset:64                          // 000000009BF8: DBFE0040 04000002
	v_mfma_i32_16x16x32_i8 v[144:147], a[150:151], a[70:71], v[144:147]// 000000009C00: D3D70090 1E428D96
	v_mfma_i32_16x16x32_i8 v[176:179], a[152:153], a[64:65], v[176:179]// 000000009C08: D3D700B0 1EC28198
	buffer_load_dwordx4 a[132:135], v76, s[24:27], 0 offen offset:1024// 000000009C10: E05C1400 8086844C
	v_mfma_i32_16x16x32_i8 v[176:179], a[154:155], a[66:67], v[176:179]// 000000009C18: D3D700B0 1EC2859A
	v_mfma_i32_16x16x32_i8 v[176:179], a[156:157], a[68:69], v[176:179]// 000000009C20: D3D700B0 1EC2899C
	ds_read_b128 a[8:11], v2 offset:512                        // 000000009C28: DBFE0200 08000002
	ds_read_b128 a[12:15], v2 offset:576                       // 000000009C30: DBFE0240 0C000002
	v_mfma_i32_16x16x32_i8 v[176:179], a[158:159], a[70:71], v[176:179]// 000000009C38: D3D700B0 1EC28D9E
	v_mfma_i32_16x16x32_i8 v[148:151], a[144:145], a[72:73], v[148:151]// 000000009C40: D3D70094 1E529190
	buffer_load_dwordx4 a[136:139], v77, s[24:27], 0 offen     // 000000009C48: E05C1000 8086884D
	v_mfma_i32_16x16x32_i8 v[148:151], a[146:147], a[74:75], v[148:151]// 000000009C50: D3D70094 1E529592
	v_mfma_i32_16x16x32_i8 v[148:151], a[148:149], a[76:77], v[148:151]// 000000009C58: D3D70094 1E529994
	ds_read_b128 a[16:19], v2 offset:1024                      // 000000009C60: DBFE0400 10000002
	ds_read_b128 a[20:23], v2 offset:1088                      // 000000009C68: DBFE0440 14000002
	v_mfma_i32_16x16x32_i8 v[148:151], a[150:151], a[78:79], v[148:151]// 000000009C70: D3D70094 1E529D96
	v_mfma_i32_16x16x32_i8 v[180:183], a[152:153], a[72:73], v[180:183]// 000000009C78: D3D700B4 1ED29198
	buffer_load_dwordx4 a[140:143], v77, s[24:27], 0 offen offset:1024// 000000009C80: E05C1400 80868C4D
	v_mfma_i32_16x16x32_i8 v[180:183], a[154:155], a[74:75], v[180:183]// 000000009C88: D3D700B4 1ED2959A
	v_mfma_i32_16x16x32_i8 v[180:183], a[156:157], a[76:77], v[180:183]// 000000009C90: D3D700B4 1ED2999C
	ds_read_b128 a[24:27], v2 offset:1536                      // 000000009C98: DBFE0600 18000002
	ds_read_b128 a[28:31], v2 offset:1600                      // 000000009CA0: DBFE0640 1C000002
	v_mfma_i32_16x16x32_i8 v[180:183], a[158:159], a[78:79], v[180:183]// 000000009CA8: D3D700B4 1ED29D9E
	v_mfma_i32_16x16x32_i8 v[152:155], a[144:145], a[80:81], v[152:155]// 000000009CB0: D3D70098 1E62A190
	v_mfma_i32_16x16x32_i8 v[152:155], a[146:147], a[82:83], v[152:155]// 000000009CB8: D3D70098 1E62A592
	v_mfma_i32_16x16x32_i8 v[152:155], a[148:149], a[84:85], v[152:155]// 000000009CC0: D3D70098 1E62A994
	ds_read_b128 a[32:35], v2 offset:2048                      // 000000009CC8: DBFE0800 20000002
	ds_read_b128 a[36:39], v2 offset:2112                      // 000000009CD0: DBFE0840 24000002
	v_mfma_i32_16x16x32_i8 v[152:155], a[150:151], a[86:87], v[152:155]// 000000009CD8: D3D70098 1E62AD96
	v_mfma_i32_16x16x32_i8 v[184:187], a[152:153], a[80:81], v[184:187]// 000000009CE0: D3D700B8 1EE2A198
	v_mfma_i32_16x16x32_i8 v[184:187], a[154:155], a[82:83], v[184:187]// 000000009CE8: D3D700B8 1EE2A59A
	v_mfma_i32_16x16x32_i8 v[184:187], a[156:157], a[84:85], v[184:187]// 000000009CF0: D3D700B8 1EE2A99C
	ds_read_b128 a[40:43], v2 offset:2560                      // 000000009CF8: DBFE0A00 28000002
	ds_read_b128 a[44:47], v2 offset:2624                      // 000000009D00: DBFE0A40 2C000002
	v_mfma_i32_16x16x32_i8 v[184:187], a[158:159], a[86:87], v[184:187]// 000000009D08: D3D700B8 1EE2AD9E
	v_mfma_i32_16x16x32_i8 v[156:159], a[144:145], a[88:89], v[156:159]// 000000009D10: D3D7009C 1E72B190
	v_mfma_i32_16x16x32_i8 v[156:159], a[146:147], a[90:91], v[156:159]// 000000009D18: D3D7009C 1E72B592
	v_mfma_i32_16x16x32_i8 v[156:159], a[148:149], a[92:93], v[156:159]// 000000009D20: D3D7009C 1E72B994
	ds_read_b128 a[48:51], v2 offset:3072                      // 000000009D28: DBFE0C00 30000002
	ds_read_b128 a[52:55], v2 offset:3136                      // 000000009D30: DBFE0C40 34000002
	v_mfma_i32_16x16x32_i8 v[156:159], a[150:151], a[94:95], v[156:159]// 000000009D38: D3D7009C 1E72BD96
	v_mfma_i32_16x16x32_i8 v[188:191], a[152:153], a[88:89], v[188:191]// 000000009D40: D3D700BC 1EF2B198
	v_mfma_i32_16x16x32_i8 v[188:191], a[154:155], a[90:91], v[188:191]// 000000009D48: D3D700BC 1EF2B59A
	v_mfma_i32_16x16x32_i8 v[188:191], a[156:157], a[92:93], v[188:191]// 000000009D50: D3D700BC 1EF2B99C
	ds_read_b128 a[56:59], v2 offset:3584                      // 000000009D58: DBFE0E00 38000002
	ds_read_b128 a[60:63], v2 offset:3648                      // 000000009D60: DBFE0E40 3C000002
	v_mfma_i32_16x16x32_i8 v[188:191], a[158:159], a[94:95], v[188:191]// 000000009D68: D3D700BC 1EF2BD9E
	v_mfma_i32_16x16x32_i8 v[160:163], a[144:145], a[96:97], v[160:163]// 000000009D70: D3D700A0 1E82C190
	v_mfma_i32_16x16x32_i8 v[160:163], a[146:147], a[98:99], v[160:163]// 000000009D78: D3D700A0 1E82C592
	v_mfma_i32_16x16x32_i8 v[160:163], a[148:149], a[100:101], v[160:163]// 000000009D80: D3D700A0 1E82C994
	v_mfma_i32_16x16x32_i8 v[160:163], a[150:151], a[102:103], v[160:163]// 000000009D88: D3D700A0 1E82CD96
	v_mfma_i32_16x16x32_i8 v[192:195], a[152:153], a[96:97], v[192:195]// 000000009D90: D3D700C0 1F02C198
	v_mfma_i32_16x16x32_i8 v[192:195], a[154:155], a[98:99], v[192:195]// 000000009D98: D3D700C0 1F02C59A
	v_mfma_i32_16x16x32_i8 v[192:195], a[156:157], a[100:101], v[192:195]// 000000009DA0: D3D700C0 1F02C99C
	v_mfma_i32_16x16x32_i8 v[192:195], a[158:159], a[102:103], v[192:195]// 000000009DA8: D3D700C0 1F02CD9E
	v_mfma_i32_16x16x32_i8 v[164:167], a[144:145], a[104:105], v[164:167]// 000000009DB0: D3D700A4 1E92D190
	v_mfma_i32_16x16x32_i8 v[164:167], a[146:147], a[106:107], v[164:167]// 000000009DB8: D3D700A4 1E92D592
	v_mfma_i32_16x16x32_i8 v[164:167], a[148:149], a[108:109], v[164:167]// 000000009DC0: D3D700A4 1E92D994
	v_mfma_i32_16x16x32_i8 v[164:167], a[150:151], a[110:111], v[164:167]// 000000009DC8: D3D700A4 1E92DD96
	v_mfma_i32_16x16x32_i8 v[196:199], a[152:153], a[104:105], v[196:199]// 000000009DD0: D3D700C4 1F12D198
	v_mfma_i32_16x16x32_i8 v[196:199], a[154:155], a[106:107], v[196:199]// 000000009DD8: D3D700C4 1F12D59A
	v_mfma_i32_16x16x32_i8 v[196:199], a[156:157], a[108:109], v[196:199]// 000000009DE0: D3D700C4 1F12D99C
	v_mfma_i32_16x16x32_i8 v[196:199], a[158:159], a[110:111], v[196:199]// 000000009DE8: D3D700C4 1F12DD9E
	v_mfma_i32_16x16x32_i8 v[168:171], a[144:145], a[112:113], v[168:171]// 000000009DF0: D3D700A8 1EA2E190
	v_mfma_i32_16x16x32_i8 v[168:171], a[146:147], a[114:115], v[168:171]// 000000009DF8: D3D700A8 1EA2E592
	v_mfma_i32_16x16x32_i8 v[168:171], a[148:149], a[116:117], v[168:171]// 000000009E00: D3D700A8 1EA2E994
	v_mfma_i32_16x16x32_i8 v[168:171], a[150:151], a[118:119], v[168:171]// 000000009E08: D3D700A8 1EA2ED96
	v_mfma_i32_16x16x32_i8 v[200:203], a[152:153], a[112:113], v[200:203]// 000000009E10: D3D700C8 1F22E198
	v_mfma_i32_16x16x32_i8 v[200:203], a[154:155], a[114:115], v[200:203]// 000000009E18: D3D700C8 1F22E59A
	v_mfma_i32_16x16x32_i8 v[200:203], a[156:157], a[116:117], v[200:203]// 000000009E20: D3D700C8 1F22E99C
	v_mfma_i32_16x16x32_i8 v[200:203], a[158:159], a[118:119], v[200:203]// 000000009E28: D3D700C8 1F22ED9E
	v_mfma_i32_16x16x32_i8 v[172:175], a[144:145], a[120:121], v[172:175]// 000000009E30: D3D700AC 1EB2F190
	v_mfma_i32_16x16x32_i8 v[172:175], a[146:147], a[122:123], v[172:175]// 000000009E38: D3D700AC 1EB2F592
	v_mfma_i32_16x16x32_i8 v[172:175], a[148:149], a[124:125], v[172:175]// 000000009E40: D3D700AC 1EB2F994
	s_add_u32 s60, 0x180, s80                                  // 000000009E48: 803C50FF 00000180
	s_cmp_lt_u32 s60, s81                                      // 000000009E50: BF0A513C
	s_cselect_b32 s57, s57, 0                                  // 000000009E54: 85398039
	v_mfma_i32_16x16x32_i8 v[172:175], a[150:151], a[126:127], v[172:175]// 000000009E58: D3D700AC 1EB2FD96
	s_add_u32 s60, 0x100, s80                                  // 000000009E60: 803C50FF 00000100
	s_cmp_lt_u32 s60, s81                                      // 000000009E68: BF0A513C
	s_cselect_b32 s58, s58, 0                                  // 000000009E6C: 853A803A
	v_mfma_i32_16x16x32_i8 v[204:207], a[152:153], a[120:121], v[204:207]// 000000009E70: D3D700CC 1F32F198
	s_add_u32 s24, s58, s24                                    // 000000009E78: 8018183A
	s_addc_u32 s25, 0, s25                                     // 000000009E7C: 82191980
	v_mfma_i32_16x16x32_i8 v[204:207], a[154:155], a[122:123], v[204:207]// 000000009E80: D3D700CC 1F32F59A
	s_add_u32 s20, s57, s20                                    // 000000009E88: 80141439
	s_addc_u32 s21, 0, s21                                     // 000000009E8C: 82151580
	v_mfma_i32_16x16x32_i8 v[204:207], a[156:157], a[124:125], v[204:207]// 000000009E90: D3D700CC 1F32F99C
	s_add_u32 s84, s83, s84                                    // 000000009E98: 80545453
	s_addc_u32 s85, 0, s85                                     // 000000009E9C: 82555580
	v_mfma_i32_16x16x32_i8 v[204:207], a[158:159], a[126:127], v[204:207]// 000000009EA0: D3D700CC 1F32FD9E
	s_addk_i32 s80, 0x80                                       // 000000009EA8: B7500080
	s_cmp_lt_i32 s80, s81                                      // 000000009EAC: BF045150
	s_cbranch_scc0 label_1D31                                  // 000000009EB0: BF840001
	s_branch label_1A20                                        // 000000009EB4: BF82FCEF

0000000000009eb8 <label_1D31>:
	v_cvt_f32_i32_e32 v80, v80                                 // 000000009EB8: 7EA00B50
	v_cvt_f32_i32_e32 v81, v81                                 // 000000009EBC: 7EA20B51
	v_cvt_f32_i32_e32 v82, v82                                 // 000000009EC0: 7EA40B52
	v_cvt_f32_i32_e32 v83, v83                                 // 000000009EC4: 7EA60B53
	v_mul_f32_dpp v80, v24, v80 row_newbcast:0 row_mask:0xf bank_mask:0xf// 000000009EC8: 0AA0A0FA FF015018
	v_mul_f32_dpp v81, v24, v81 row_newbcast:1 row_mask:0xf bank_mask:0xf// 000000009ED0: 0AA2A2FA FF015118
	v_mul_f32_dpp v82, v24, v82 row_newbcast:2 row_mask:0xf bank_mask:0xf// 000000009ED8: 0AA4A4FA FF015218
	v_mul_f32_dpp v83, v24, v83 row_newbcast:3 row_mask:0xf bank_mask:0xf// 000000009EE0: 0AA6A6FA FF015318
	v_cvt_f32_i32_e32 v84, v84                                 // 000000009EE8: 7EA80B54
	v_cvt_f32_i32_e32 v85, v85                                 // 000000009EEC: 7EAA0B55
	v_cvt_f32_i32_e32 v86, v86                                 // 000000009EF0: 7EAC0B56
	v_cvt_f32_i32_e32 v87, v87                                 // 000000009EF4: 7EAE0B57
	v_mul_f32_dpp v84, v24, v84 row_newbcast:0 row_mask:0xf bank_mask:0xf// 000000009EF8: 0AA8A8FA FF015018
	v_mul_f32_dpp v85, v24, v85 row_newbcast:1 row_mask:0xf bank_mask:0xf// 000000009F00: 0AAAAAFA FF015118
	v_mul_f32_dpp v86, v24, v86 row_newbcast:2 row_mask:0xf bank_mask:0xf// 000000009F08: 0AACACFA FF015218
	v_mul_f32_dpp v87, v24, v87 row_newbcast:3 row_mask:0xf bank_mask:0xf// 000000009F10: 0AAEAEFA FF015318
	v_cvt_f32_i32_e32 v88, v88                                 // 000000009F18: 7EB00B58
	v_cvt_f32_i32_e32 v89, v89                                 // 000000009F1C: 7EB20B59
	v_cvt_f32_i32_e32 v90, v90                                 // 000000009F20: 7EB40B5A
	v_cvt_f32_i32_e32 v91, v91                                 // 000000009F24: 7EB60B5B
	v_mul_f32_dpp v88, v24, v88 row_newbcast:0 row_mask:0xf bank_mask:0xf// 000000009F28: 0AB0B0FA FF015018
	v_mul_f32_dpp v89, v24, v89 row_newbcast:1 row_mask:0xf bank_mask:0xf// 000000009F30: 0AB2B2FA FF015118
	v_mul_f32_dpp v90, v24, v90 row_newbcast:2 row_mask:0xf bank_mask:0xf// 000000009F38: 0AB4B4FA FF015218
	v_mul_f32_dpp v91, v24, v91 row_newbcast:3 row_mask:0xf bank_mask:0xf// 000000009F40: 0AB6B6FA FF015318
	v_cvt_f32_i32_e32 v92, v92                                 // 000000009F48: 7EB80B5C
	v_cvt_f32_i32_e32 v93, v93                                 // 000000009F4C: 7EBA0B5D
	v_cvt_f32_i32_e32 v94, v94                                 // 000000009F50: 7EBC0B5E
	v_cvt_f32_i32_e32 v95, v95                                 // 000000009F54: 7EBE0B5F
	v_mul_f32_dpp v92, v24, v92 row_newbcast:0 row_mask:0xf bank_mask:0xf// 000000009F58: 0AB8B8FA FF015018
	v_mul_f32_dpp v93, v24, v93 row_newbcast:1 row_mask:0xf bank_mask:0xf// 000000009F60: 0ABABAFA FF015118
	v_mul_f32_dpp v94, v24, v94 row_newbcast:2 row_mask:0xf bank_mask:0xf// 000000009F68: 0ABCBCFA FF015218
	v_mul_f32_dpp v95, v24, v95 row_newbcast:3 row_mask:0xf bank_mask:0xf// 000000009F70: 0ABEBEFA FF015318
	v_cvt_f32_i32_e32 v96, v96                                 // 000000009F78: 7EC00B60
	v_cvt_f32_i32_e32 v97, v97                                 // 000000009F7C: 7EC20B61
	v_cvt_f32_i32_e32 v98, v98                                 // 000000009F80: 7EC40B62
	v_cvt_f32_i32_e32 v99, v99                                 // 000000009F84: 7EC60B63
	v_mul_f32_dpp v96, v24, v96 row_newbcast:0 row_mask:0xf bank_mask:0xf// 000000009F88: 0AC0C0FA FF015018
	v_mul_f32_dpp v97, v24, v97 row_newbcast:1 row_mask:0xf bank_mask:0xf// 000000009F90: 0AC2C2FA FF015118
	v_mul_f32_dpp v98, v24, v98 row_newbcast:2 row_mask:0xf bank_mask:0xf// 000000009F98: 0AC4C4FA FF015218
	v_mul_f32_dpp v99, v24, v99 row_newbcast:3 row_mask:0xf bank_mask:0xf// 000000009FA0: 0AC6C6FA FF015318
	v_cvt_f32_i32_e32 v100, v100                               // 000000009FA8: 7EC80B64
	v_cvt_f32_i32_e32 v101, v101                               // 000000009FAC: 7ECA0B65
	v_cvt_f32_i32_e32 v102, v102                               // 000000009FB0: 7ECC0B66
	v_cvt_f32_i32_e32 v103, v103                               // 000000009FB4: 7ECE0B67
	v_mul_f32_dpp v100, v24, v100 row_newbcast:0 row_mask:0xf bank_mask:0xf// 000000009FB8: 0AC8C8FA FF015018
	v_mul_f32_dpp v101, v24, v101 row_newbcast:1 row_mask:0xf bank_mask:0xf// 000000009FC0: 0ACACAFA FF015118
	v_mul_f32_dpp v102, v24, v102 row_newbcast:2 row_mask:0xf bank_mask:0xf// 000000009FC8: 0ACCCCFA FF015218
	v_mul_f32_dpp v103, v24, v103 row_newbcast:3 row_mask:0xf bank_mask:0xf// 000000009FD0: 0ACECEFA FF015318
	v_cvt_f32_i32_e32 v104, v104                               // 000000009FD8: 7ED00B68
	v_cvt_f32_i32_e32 v105, v105                               // 000000009FDC: 7ED20B69
	v_cvt_f32_i32_e32 v106, v106                               // 000000009FE0: 7ED40B6A
	v_cvt_f32_i32_e32 v107, v107                               // 000000009FE4: 7ED60B6B
	v_mul_f32_dpp v104, v24, v104 row_newbcast:0 row_mask:0xf bank_mask:0xf// 000000009FE8: 0AD0D0FA FF015018
	v_mul_f32_dpp v105, v24, v105 row_newbcast:1 row_mask:0xf bank_mask:0xf// 000000009FF0: 0AD2D2FA FF015118
	v_mul_f32_dpp v106, v24, v106 row_newbcast:2 row_mask:0xf bank_mask:0xf// 000000009FF8: 0AD4D4FA FF015218
	v_mul_f32_dpp v107, v24, v107 row_newbcast:3 row_mask:0xf bank_mask:0xf// 00000000A000: 0AD6D6FA FF015318
	v_cvt_f32_i32_e32 v108, v108                               // 00000000A008: 7ED80B6C
	v_cvt_f32_i32_e32 v109, v109                               // 00000000A00C: 7EDA0B6D
	v_cvt_f32_i32_e32 v110, v110                               // 00000000A010: 7EDC0B6E
	v_cvt_f32_i32_e32 v111, v111                               // 00000000A014: 7EDE0B6F
	v_mul_f32_dpp v108, v24, v108 row_newbcast:0 row_mask:0xf bank_mask:0xf// 00000000A018: 0AD8D8FA FF015018
	v_mul_f32_dpp v109, v24, v109 row_newbcast:1 row_mask:0xf bank_mask:0xf// 00000000A020: 0ADADAFA FF015118
	v_mul_f32_dpp v110, v24, v110 row_newbcast:2 row_mask:0xf bank_mask:0xf// 00000000A028: 0ADCDCFA FF015218
	v_mul_f32_dpp v111, v24, v111 row_newbcast:3 row_mask:0xf bank_mask:0xf// 00000000A030: 0ADEDEFA FF015318
	v_cvt_f32_i32_e32 v112, v112                               // 00000000A038: 7EE00B70
	v_cvt_f32_i32_e32 v113, v113                               // 00000000A03C: 7EE20B71
	v_cvt_f32_i32_e32 v114, v114                               // 00000000A040: 7EE40B72
	v_cvt_f32_i32_e32 v115, v115                               // 00000000A044: 7EE60B73
	v_mul_f32_dpp v112, v24, v112 row_newbcast:4 row_mask:0xf bank_mask:0xf// 00000000A048: 0AE0E0FA FF015418
	v_mul_f32_dpp v113, v24, v113 row_newbcast:5 row_mask:0xf bank_mask:0xf// 00000000A050: 0AE2E2FA FF015518
	v_mul_f32_dpp v114, v24, v114 row_newbcast:6 row_mask:0xf bank_mask:0xf// 00000000A058: 0AE4E4FA FF015618
	v_mul_f32_dpp v115, v24, v115 row_newbcast:7 row_mask:0xf bank_mask:0xf// 00000000A060: 0AE6E6FA FF015718
	v_cvt_f32_i32_e32 v116, v116                               // 00000000A068: 7EE80B74
	v_cvt_f32_i32_e32 v117, v117                               // 00000000A06C: 7EEA0B75
	v_cvt_f32_i32_e32 v118, v118                               // 00000000A070: 7EEC0B76
	v_cvt_f32_i32_e32 v119, v119                               // 00000000A074: 7EEE0B77
	v_mul_f32_dpp v116, v24, v116 row_newbcast:4 row_mask:0xf bank_mask:0xf// 00000000A078: 0AE8E8FA FF015418
	v_mul_f32_dpp v117, v24, v117 row_newbcast:5 row_mask:0xf bank_mask:0xf// 00000000A080: 0AEAEAFA FF015518
	v_mul_f32_dpp v118, v24, v118 row_newbcast:6 row_mask:0xf bank_mask:0xf// 00000000A088: 0AECECFA FF015618
	v_mul_f32_dpp v119, v24, v119 row_newbcast:7 row_mask:0xf bank_mask:0xf// 00000000A090: 0AEEEEFA FF015718
	v_cvt_f32_i32_e32 v120, v120                               // 00000000A098: 7EF00B78
	v_cvt_f32_i32_e32 v121, v121                               // 00000000A09C: 7EF20B79
	v_cvt_f32_i32_e32 v122, v122                               // 00000000A0A0: 7EF40B7A
	v_cvt_f32_i32_e32 v123, v123                               // 00000000A0A4: 7EF60B7B
	v_mul_f32_dpp v120, v24, v120 row_newbcast:4 row_mask:0xf bank_mask:0xf// 00000000A0A8: 0AF0F0FA FF015418
	v_mul_f32_dpp v121, v24, v121 row_newbcast:5 row_mask:0xf bank_mask:0xf// 00000000A0B0: 0AF2F2FA FF015518
	v_mul_f32_dpp v122, v24, v122 row_newbcast:6 row_mask:0xf bank_mask:0xf// 00000000A0B8: 0AF4F4FA FF015618
	v_mul_f32_dpp v123, v24, v123 row_newbcast:7 row_mask:0xf bank_mask:0xf// 00000000A0C0: 0AF6F6FA FF015718
	v_cvt_f32_i32_e32 v124, v124                               // 00000000A0C8: 7EF80B7C
	v_cvt_f32_i32_e32 v125, v125                               // 00000000A0CC: 7EFA0B7D
	v_cvt_f32_i32_e32 v126, v126                               // 00000000A0D0: 7EFC0B7E
	v_cvt_f32_i32_e32 v127, v127                               // 00000000A0D4: 7EFE0B7F
	v_mul_f32_dpp v124, v24, v124 row_newbcast:4 row_mask:0xf bank_mask:0xf// 00000000A0D8: 0AF8F8FA FF015418
	v_mul_f32_dpp v125, v24, v125 row_newbcast:5 row_mask:0xf bank_mask:0xf// 00000000A0E0: 0AFAFAFA FF015518
	v_mul_f32_dpp v126, v24, v126 row_newbcast:6 row_mask:0xf bank_mask:0xf// 00000000A0E8: 0AFCFCFA FF015618
	v_mul_f32_dpp v127, v24, v127 row_newbcast:7 row_mask:0xf bank_mask:0xf// 00000000A0F0: 0AFEFEFA FF015718
	v_cvt_f32_i32_e32 v128, v128                               // 00000000A0F8: 7F000B80
	v_cvt_f32_i32_e32 v129, v129                               // 00000000A0FC: 7F020B81
	v_cvt_f32_i32_e32 v130, v130                               // 00000000A100: 7F040B82
	v_cvt_f32_i32_e32 v131, v131                               // 00000000A104: 7F060B83
	v_mul_f32_dpp v128, v24, v128 row_newbcast:4 row_mask:0xf bank_mask:0xf// 00000000A108: 0B0100FA FF015418
	v_mul_f32_dpp v129, v24, v129 row_newbcast:5 row_mask:0xf bank_mask:0xf// 00000000A110: 0B0302FA FF015518
	v_mul_f32_dpp v130, v24, v130 row_newbcast:6 row_mask:0xf bank_mask:0xf// 00000000A118: 0B0504FA FF015618
	v_mul_f32_dpp v131, v24, v131 row_newbcast:7 row_mask:0xf bank_mask:0xf// 00000000A120: 0B0706FA FF015718
	v_cvt_f32_i32_e32 v132, v132                               // 00000000A128: 7F080B84
	v_cvt_f32_i32_e32 v133, v133                               // 00000000A12C: 7F0A0B85
	v_cvt_f32_i32_e32 v134, v134                               // 00000000A130: 7F0C0B86
	v_cvt_f32_i32_e32 v135, v135                               // 00000000A134: 7F0E0B87
	v_mul_f32_dpp v132, v24, v132 row_newbcast:4 row_mask:0xf bank_mask:0xf// 00000000A138: 0B0908FA FF015418
	v_mul_f32_dpp v133, v24, v133 row_newbcast:5 row_mask:0xf bank_mask:0xf// 00000000A140: 0B0B0AFA FF015518
	v_mul_f32_dpp v134, v24, v134 row_newbcast:6 row_mask:0xf bank_mask:0xf// 00000000A148: 0B0D0CFA FF015618
	v_mul_f32_dpp v135, v24, v135 row_newbcast:7 row_mask:0xf bank_mask:0xf// 00000000A150: 0B0F0EFA FF015718
	v_cvt_f32_i32_e32 v136, v136                               // 00000000A158: 7F100B88
	v_cvt_f32_i32_e32 v137, v137                               // 00000000A15C: 7F120B89
	v_cvt_f32_i32_e32 v138, v138                               // 00000000A160: 7F140B8A
	v_cvt_f32_i32_e32 v139, v139                               // 00000000A164: 7F160B8B
	v_mul_f32_dpp v136, v24, v136 row_newbcast:4 row_mask:0xf bank_mask:0xf// 00000000A168: 0B1110FA FF015418
	v_mul_f32_dpp v137, v24, v137 row_newbcast:5 row_mask:0xf bank_mask:0xf// 00000000A170: 0B1312FA FF015518
	v_mul_f32_dpp v138, v24, v138 row_newbcast:6 row_mask:0xf bank_mask:0xf// 00000000A178: 0B1514FA FF015618
	v_mul_f32_dpp v139, v24, v139 row_newbcast:7 row_mask:0xf bank_mask:0xf// 00000000A180: 0B1716FA FF015718
	v_cvt_f32_i32_e32 v140, v140                               // 00000000A188: 7F180B8C
	v_cvt_f32_i32_e32 v141, v141                               // 00000000A18C: 7F1A0B8D
	v_cvt_f32_i32_e32 v142, v142                               // 00000000A190: 7F1C0B8E
	v_cvt_f32_i32_e32 v143, v143                               // 00000000A194: 7F1E0B8F
	v_mul_f32_dpp v140, v24, v140 row_newbcast:4 row_mask:0xf bank_mask:0xf// 00000000A198: 0B1918FA FF015418
	v_mul_f32_dpp v141, v24, v141 row_newbcast:5 row_mask:0xf bank_mask:0xf// 00000000A1A0: 0B1B1AFA FF015518
	v_mul_f32_dpp v142, v24, v142 row_newbcast:6 row_mask:0xf bank_mask:0xf// 00000000A1A8: 0B1D1CFA FF015618
	v_mul_f32_dpp v143, v24, v143 row_newbcast:7 row_mask:0xf bank_mask:0xf// 00000000A1B0: 0B1F1EFA FF015718
	v_cvt_f32_i32_e32 v144, v144                               // 00000000A1B8: 7F200B90
	v_cvt_f32_i32_e32 v145, v145                               // 00000000A1BC: 7F220B91
	v_cvt_f32_i32_e32 v146, v146                               // 00000000A1C0: 7F240B92
	v_cvt_f32_i32_e32 v147, v147                               // 00000000A1C4: 7F260B93
	v_mul_f32_dpp v144, v26, v144 row_newbcast:0 row_mask:0xf bank_mask:0xf// 00000000A1C8: 0B2120FA FF01501A
	v_mul_f32_dpp v145, v26, v145 row_newbcast:1 row_mask:0xf bank_mask:0xf// 00000000A1D0: 0B2322FA FF01511A
	v_mul_f32_dpp v146, v26, v146 row_newbcast:2 row_mask:0xf bank_mask:0xf// 00000000A1D8: 0B2524FA FF01521A
	v_mul_f32_dpp v147, v26, v147 row_newbcast:3 row_mask:0xf bank_mask:0xf// 00000000A1E0: 0B2726FA FF01531A
	v_cvt_f32_i32_e32 v148, v148                               // 00000000A1E8: 7F280B94
	v_cvt_f32_i32_e32 v149, v149                               // 00000000A1EC: 7F2A0B95
	v_cvt_f32_i32_e32 v150, v150                               // 00000000A1F0: 7F2C0B96
	v_cvt_f32_i32_e32 v151, v151                               // 00000000A1F4: 7F2E0B97
	v_mul_f32_dpp v148, v26, v148 row_newbcast:0 row_mask:0xf bank_mask:0xf// 00000000A1F8: 0B2928FA FF01501A
	v_mul_f32_dpp v149, v26, v149 row_newbcast:1 row_mask:0xf bank_mask:0xf// 00000000A200: 0B2B2AFA FF01511A
	v_mul_f32_dpp v150, v26, v150 row_newbcast:2 row_mask:0xf bank_mask:0xf// 00000000A208: 0B2D2CFA FF01521A
	v_mul_f32_dpp v151, v26, v151 row_newbcast:3 row_mask:0xf bank_mask:0xf// 00000000A210: 0B2F2EFA FF01531A
	v_cvt_f32_i32_e32 v152, v152                               // 00000000A218: 7F300B98
	v_cvt_f32_i32_e32 v153, v153                               // 00000000A21C: 7F320B99
	v_cvt_f32_i32_e32 v154, v154                               // 00000000A220: 7F340B9A
	v_cvt_f32_i32_e32 v155, v155                               // 00000000A224: 7F360B9B
	v_mul_f32_dpp v152, v26, v152 row_newbcast:0 row_mask:0xf bank_mask:0xf// 00000000A228: 0B3130FA FF01501A
	v_mul_f32_dpp v153, v26, v153 row_newbcast:1 row_mask:0xf bank_mask:0xf// 00000000A230: 0B3332FA FF01511A
	v_mul_f32_dpp v154, v26, v154 row_newbcast:2 row_mask:0xf bank_mask:0xf// 00000000A238: 0B3534FA FF01521A
	v_mul_f32_dpp v155, v26, v155 row_newbcast:3 row_mask:0xf bank_mask:0xf// 00000000A240: 0B3736FA FF01531A
	v_cvt_f32_i32_e32 v156, v156                               // 00000000A248: 7F380B9C
	v_cvt_f32_i32_e32 v157, v157                               // 00000000A24C: 7F3A0B9D
	v_cvt_f32_i32_e32 v158, v158                               // 00000000A250: 7F3C0B9E
	v_cvt_f32_i32_e32 v159, v159                               // 00000000A254: 7F3E0B9F
	v_mul_f32_dpp v156, v26, v156 row_newbcast:0 row_mask:0xf bank_mask:0xf// 00000000A258: 0B3938FA FF01501A
	v_mul_f32_dpp v157, v26, v157 row_newbcast:1 row_mask:0xf bank_mask:0xf// 00000000A260: 0B3B3AFA FF01511A
	v_mul_f32_dpp v158, v26, v158 row_newbcast:2 row_mask:0xf bank_mask:0xf// 00000000A268: 0B3D3CFA FF01521A
	v_mul_f32_dpp v159, v26, v159 row_newbcast:3 row_mask:0xf bank_mask:0xf// 00000000A270: 0B3F3EFA FF01531A
	v_cvt_f32_i32_e32 v160, v160                               // 00000000A278: 7F400BA0
	v_cvt_f32_i32_e32 v161, v161                               // 00000000A27C: 7F420BA1
	v_cvt_f32_i32_e32 v162, v162                               // 00000000A280: 7F440BA2
	v_cvt_f32_i32_e32 v163, v163                               // 00000000A284: 7F460BA3
	v_mul_f32_dpp v160, v26, v160 row_newbcast:0 row_mask:0xf bank_mask:0xf// 00000000A288: 0B4140FA FF01501A
	v_mul_f32_dpp v161, v26, v161 row_newbcast:1 row_mask:0xf bank_mask:0xf// 00000000A290: 0B4342FA FF01511A
	v_mul_f32_dpp v162, v26, v162 row_newbcast:2 row_mask:0xf bank_mask:0xf// 00000000A298: 0B4544FA FF01521A
	v_mul_f32_dpp v163, v26, v163 row_newbcast:3 row_mask:0xf bank_mask:0xf// 00000000A2A0: 0B4746FA FF01531A
	v_cvt_f32_i32_e32 v164, v164                               // 00000000A2A8: 7F480BA4
	v_cvt_f32_i32_e32 v165, v165                               // 00000000A2AC: 7F4A0BA5
	v_cvt_f32_i32_e32 v166, v166                               // 00000000A2B0: 7F4C0BA6
	v_cvt_f32_i32_e32 v167, v167                               // 00000000A2B4: 7F4E0BA7
	v_mul_f32_dpp v164, v26, v164 row_newbcast:0 row_mask:0xf bank_mask:0xf// 00000000A2B8: 0B4948FA FF01501A
	v_mul_f32_dpp v165, v26, v165 row_newbcast:1 row_mask:0xf bank_mask:0xf// 00000000A2C0: 0B4B4AFA FF01511A
	v_mul_f32_dpp v166, v26, v166 row_newbcast:2 row_mask:0xf bank_mask:0xf// 00000000A2C8: 0B4D4CFA FF01521A
	v_mul_f32_dpp v167, v26, v167 row_newbcast:3 row_mask:0xf bank_mask:0xf// 00000000A2D0: 0B4F4EFA FF01531A
	v_cvt_f32_i32_e32 v168, v168                               // 00000000A2D8: 7F500BA8
	v_cvt_f32_i32_e32 v169, v169                               // 00000000A2DC: 7F520BA9
	v_cvt_f32_i32_e32 v170, v170                               // 00000000A2E0: 7F540BAA
	v_cvt_f32_i32_e32 v171, v171                               // 00000000A2E4: 7F560BAB
	v_mul_f32_dpp v168, v26, v168 row_newbcast:0 row_mask:0xf bank_mask:0xf// 00000000A2E8: 0B5150FA FF01501A
	v_mul_f32_dpp v169, v26, v169 row_newbcast:1 row_mask:0xf bank_mask:0xf// 00000000A2F0: 0B5352FA FF01511A
	v_mul_f32_dpp v170, v26, v170 row_newbcast:2 row_mask:0xf bank_mask:0xf// 00000000A2F8: 0B5554FA FF01521A
	v_mul_f32_dpp v171, v26, v171 row_newbcast:3 row_mask:0xf bank_mask:0xf// 00000000A300: 0B5756FA FF01531A
	v_cvt_f32_i32_e32 v172, v172                               // 00000000A308: 7F580BAC
	v_cvt_f32_i32_e32 v173, v173                               // 00000000A30C: 7F5A0BAD
	v_cvt_f32_i32_e32 v174, v174                               // 00000000A310: 7F5C0BAE
	v_cvt_f32_i32_e32 v175, v175                               // 00000000A314: 7F5E0BAF
	v_mul_f32_dpp v172, v26, v172 row_newbcast:0 row_mask:0xf bank_mask:0xf// 00000000A318: 0B5958FA FF01501A
	v_mul_f32_dpp v173, v26, v173 row_newbcast:1 row_mask:0xf bank_mask:0xf// 00000000A320: 0B5B5AFA FF01511A
	v_mul_f32_dpp v174, v26, v174 row_newbcast:2 row_mask:0xf bank_mask:0xf// 00000000A328: 0B5D5CFA FF01521A
	v_mul_f32_dpp v175, v26, v175 row_newbcast:3 row_mask:0xf bank_mask:0xf// 00000000A330: 0B5F5EFA FF01531A
	v_cvt_f32_i32_e32 v176, v176                               // 00000000A338: 7F600BB0
	v_cvt_f32_i32_e32 v177, v177                               // 00000000A33C: 7F620BB1
	v_cvt_f32_i32_e32 v178, v178                               // 00000000A340: 7F640BB2
	v_cvt_f32_i32_e32 v179, v179                               // 00000000A344: 7F660BB3
	v_mul_f32_dpp v176, v26, v176 row_newbcast:4 row_mask:0xf bank_mask:0xf// 00000000A348: 0B6160FA FF01541A
	v_mul_f32_dpp v177, v26, v177 row_newbcast:5 row_mask:0xf bank_mask:0xf// 00000000A350: 0B6362FA FF01551A
	v_mul_f32_dpp v178, v26, v178 row_newbcast:6 row_mask:0xf bank_mask:0xf// 00000000A358: 0B6564FA FF01561A
	v_mul_f32_dpp v179, v26, v179 row_newbcast:7 row_mask:0xf bank_mask:0xf// 00000000A360: 0B6766FA FF01571A
	v_cvt_f32_i32_e32 v180, v180                               // 00000000A368: 7F680BB4
	v_cvt_f32_i32_e32 v181, v181                               // 00000000A36C: 7F6A0BB5
	v_cvt_f32_i32_e32 v182, v182                               // 00000000A370: 7F6C0BB6
	v_cvt_f32_i32_e32 v183, v183                               // 00000000A374: 7F6E0BB7
	v_mul_f32_dpp v180, v26, v180 row_newbcast:4 row_mask:0xf bank_mask:0xf// 00000000A378: 0B6968FA FF01541A
	v_mul_f32_dpp v181, v26, v181 row_newbcast:5 row_mask:0xf bank_mask:0xf// 00000000A380: 0B6B6AFA FF01551A
	v_mul_f32_dpp v182, v26, v182 row_newbcast:6 row_mask:0xf bank_mask:0xf// 00000000A388: 0B6D6CFA FF01561A
	v_mul_f32_dpp v183, v26, v183 row_newbcast:7 row_mask:0xf bank_mask:0xf// 00000000A390: 0B6F6EFA FF01571A
	v_cvt_f32_i32_e32 v184, v184                               // 00000000A398: 7F700BB8
	v_cvt_f32_i32_e32 v185, v185                               // 00000000A39C: 7F720BB9
	v_cvt_f32_i32_e32 v186, v186                               // 00000000A3A0: 7F740BBA
	v_cvt_f32_i32_e32 v187, v187                               // 00000000A3A4: 7F760BBB
	v_mul_f32_dpp v184, v26, v184 row_newbcast:4 row_mask:0xf bank_mask:0xf// 00000000A3A8: 0B7170FA FF01541A
	v_mul_f32_dpp v185, v26, v185 row_newbcast:5 row_mask:0xf bank_mask:0xf// 00000000A3B0: 0B7372FA FF01551A
	v_mul_f32_dpp v186, v26, v186 row_newbcast:6 row_mask:0xf bank_mask:0xf// 00000000A3B8: 0B7574FA FF01561A
	v_mul_f32_dpp v187, v26, v187 row_newbcast:7 row_mask:0xf bank_mask:0xf// 00000000A3C0: 0B7776FA FF01571A
	v_cvt_f32_i32_e32 v188, v188                               // 00000000A3C8: 7F780BBC
	v_cvt_f32_i32_e32 v189, v189                               // 00000000A3CC: 7F7A0BBD
	v_cvt_f32_i32_e32 v190, v190                               // 00000000A3D0: 7F7C0BBE
	v_cvt_f32_i32_e32 v191, v191                               // 00000000A3D4: 7F7E0BBF
	v_mul_f32_dpp v188, v26, v188 row_newbcast:4 row_mask:0xf bank_mask:0xf// 00000000A3D8: 0B7978FA FF01541A
	v_mul_f32_dpp v189, v26, v189 row_newbcast:5 row_mask:0xf bank_mask:0xf// 00000000A3E0: 0B7B7AFA FF01551A
	v_mul_f32_dpp v190, v26, v190 row_newbcast:6 row_mask:0xf bank_mask:0xf// 00000000A3E8: 0B7D7CFA FF01561A
	v_mul_f32_dpp v191, v26, v191 row_newbcast:7 row_mask:0xf bank_mask:0xf// 00000000A3F0: 0B7F7EFA FF01571A
	v_cvt_f32_i32_e32 v192, v192                               // 00000000A3F8: 7F800BC0
	v_cvt_f32_i32_e32 v193, v193                               // 00000000A3FC: 7F820BC1
	v_cvt_f32_i32_e32 v194, v194                               // 00000000A400: 7F840BC2
	v_cvt_f32_i32_e32 v195, v195                               // 00000000A404: 7F860BC3
	v_mul_f32_dpp v192, v26, v192 row_newbcast:4 row_mask:0xf bank_mask:0xf// 00000000A408: 0B8180FA FF01541A
	v_mul_f32_dpp v193, v26, v193 row_newbcast:5 row_mask:0xf bank_mask:0xf// 00000000A410: 0B8382FA FF01551A
	v_mul_f32_dpp v194, v26, v194 row_newbcast:6 row_mask:0xf bank_mask:0xf// 00000000A418: 0B8584FA FF01561A
	v_mul_f32_dpp v195, v26, v195 row_newbcast:7 row_mask:0xf bank_mask:0xf// 00000000A420: 0B8786FA FF01571A
	v_cvt_f32_i32_e32 v196, v196                               // 00000000A428: 7F880BC4
	v_cvt_f32_i32_e32 v197, v197                               // 00000000A42C: 7F8A0BC5
	v_cvt_f32_i32_e32 v198, v198                               // 00000000A430: 7F8C0BC6
	v_cvt_f32_i32_e32 v199, v199                               // 00000000A434: 7F8E0BC7
	v_mul_f32_dpp v196, v26, v196 row_newbcast:4 row_mask:0xf bank_mask:0xf// 00000000A438: 0B8988FA FF01541A
	v_mul_f32_dpp v197, v26, v197 row_newbcast:5 row_mask:0xf bank_mask:0xf// 00000000A440: 0B8B8AFA FF01551A
	v_mul_f32_dpp v198, v26, v198 row_newbcast:6 row_mask:0xf bank_mask:0xf// 00000000A448: 0B8D8CFA FF01561A
	v_mul_f32_dpp v199, v26, v199 row_newbcast:7 row_mask:0xf bank_mask:0xf// 00000000A450: 0B8F8EFA FF01571A
	v_cvt_f32_i32_e32 v200, v200                               // 00000000A458: 7F900BC8
	v_cvt_f32_i32_e32 v201, v201                               // 00000000A45C: 7F920BC9
	v_cvt_f32_i32_e32 v202, v202                               // 00000000A460: 7F940BCA
	v_cvt_f32_i32_e32 v203, v203                               // 00000000A464: 7F960BCB
	v_mul_f32_dpp v200, v26, v200 row_newbcast:4 row_mask:0xf bank_mask:0xf// 00000000A468: 0B9190FA FF01541A
	v_mul_f32_dpp v201, v26, v201 row_newbcast:5 row_mask:0xf bank_mask:0xf// 00000000A470: 0B9392FA FF01551A
	v_mul_f32_dpp v202, v26, v202 row_newbcast:6 row_mask:0xf bank_mask:0xf// 00000000A478: 0B9594FA FF01561A
	v_mul_f32_dpp v203, v26, v203 row_newbcast:7 row_mask:0xf bank_mask:0xf// 00000000A480: 0B9796FA FF01571A
	v_cvt_f32_i32_e32 v204, v204                               // 00000000A488: 7F980BCC
	v_cvt_f32_i32_e32 v205, v205                               // 00000000A48C: 7F9A0BCD
	v_cvt_f32_i32_e32 v206, v206                               // 00000000A490: 7F9C0BCE
	v_cvt_f32_i32_e32 v207, v207                               // 00000000A494: 7F9E0BCF
	v_mul_f32_dpp v204, v26, v204 row_newbcast:4 row_mask:0xf bank_mask:0xf// 00000000A498: 0B9998FA FF01541A
	v_mul_f32_dpp v205, v26, v205 row_newbcast:5 row_mask:0xf bank_mask:0xf// 00000000A4A0: 0B9B9AFA FF01551A
	v_mul_f32_dpp v206, v26, v206 row_newbcast:6 row_mask:0xf bank_mask:0xf// 00000000A4A8: 0B9D9CFA FF01561A
	v_mul_f32_dpp v207, v26, v207 row_newbcast:7 row_mask:0xf bank_mask:0xf// 00000000A4B0: 0B9F9EFA FF01571A
	v_mov_b32_e32 v4, v36                                      // 00000000A4B8: 7E080324
	v_mov_b32_e32 v5, v4                                       // 00000000A4BC: 7E0A0304
	v_pk_mul_f32 v[80:81], v[4:5], v[80:81]                    // 00000000A4C0: D3B14050 1802A104
	v_pk_mul_f32 v[144:145], v[4:5], v[144:145]                // 00000000A4C8: D3B14090 18032104
	v_pk_mul_f32 v[82:83], v[4:5], v[82:83]                    // 00000000A4D0: D3B14052 1802A504
	v_pk_mul_f32 v[146:147], v[4:5], v[146:147]                // 00000000A4D8: D3B14092 18032504
	v_pk_mul_f32 v[112:113], v[4:5], v[112:113]                // 00000000A4E0: D3B14070 1802E104
	v_pk_mul_f32 v[176:177], v[4:5], v[176:177]                // 00000000A4E8: D3B140B0 18036104
	v_pk_mul_f32 v[114:115], v[4:5], v[114:115]                // 00000000A4F0: D3B14072 1802E504
	v_pk_mul_f32 v[178:179], v[4:5], v[178:179]                // 00000000A4F8: D3B140B2 18036504
	v_mov_b32_e32 v4, v37                                      // 00000000A500: 7E080325
	v_mov_b32_e32 v5, v4                                       // 00000000A504: 7E0A0304
	v_pk_mul_f32 v[84:85], v[4:5], v[84:85]                    // 00000000A508: D3B14054 1802A904
	v_pk_mul_f32 v[148:149], v[4:5], v[148:149]                // 00000000A510: D3B14094 18032904
	v_pk_mul_f32 v[86:87], v[4:5], v[86:87]                    // 00000000A518: D3B14056 1802AD04
	v_pk_mul_f32 v[150:151], v[4:5], v[150:151]                // 00000000A520: D3B14096 18032D04
	v_pk_mul_f32 v[116:117], v[4:5], v[116:117]                // 00000000A528: D3B14074 1802E904
	v_pk_mul_f32 v[180:181], v[4:5], v[180:181]                // 00000000A530: D3B140B4 18036904
	v_pk_mul_f32 v[118:119], v[4:5], v[118:119]                // 00000000A538: D3B14076 1802ED04
	v_pk_mul_f32 v[182:183], v[4:5], v[182:183]                // 00000000A540: D3B140B6 18036D04
	v_mov_b32_e32 v4, v38                                      // 00000000A548: 7E080326
	v_mov_b32_e32 v5, v4                                       // 00000000A54C: 7E0A0304
	v_pk_mul_f32 v[88:89], v[4:5], v[88:89]                    // 00000000A550: D3B14058 1802B104
	v_pk_mul_f32 v[152:153], v[4:5], v[152:153]                // 00000000A558: D3B14098 18033104
	v_pk_mul_f32 v[90:91], v[4:5], v[90:91]                    // 00000000A560: D3B1405A 1802B504
	v_pk_mul_f32 v[154:155], v[4:5], v[154:155]                // 00000000A568: D3B1409A 18033504
	v_pk_mul_f32 v[120:121], v[4:5], v[120:121]                // 00000000A570: D3B14078 1802F104
	v_pk_mul_f32 v[184:185], v[4:5], v[184:185]                // 00000000A578: D3B140B8 18037104
	v_pk_mul_f32 v[122:123], v[4:5], v[122:123]                // 00000000A580: D3B1407A 1802F504
	v_pk_mul_f32 v[186:187], v[4:5], v[186:187]                // 00000000A588: D3B140BA 18037504
	v_mov_b32_e32 v4, v39                                      // 00000000A590: 7E080327
	v_mov_b32_e32 v5, v4                                       // 00000000A594: 7E0A0304
	v_pk_mul_f32 v[92:93], v[4:5], v[92:93]                    // 00000000A598: D3B1405C 1802B904
	v_pk_mul_f32 v[156:157], v[4:5], v[156:157]                // 00000000A5A0: D3B1409C 18033904
	v_pk_mul_f32 v[94:95], v[4:5], v[94:95]                    // 00000000A5A8: D3B1405E 1802BD04
	v_pk_mul_f32 v[158:159], v[4:5], v[158:159]                // 00000000A5B0: D3B1409E 18033D04
	v_pk_mul_f32 v[124:125], v[4:5], v[124:125]                // 00000000A5B8: D3B1407C 1802F904
	v_pk_mul_f32 v[188:189], v[4:5], v[188:189]                // 00000000A5C0: D3B140BC 18037904
	v_pk_mul_f32 v[126:127], v[4:5], v[126:127]                // 00000000A5C8: D3B1407E 1802FD04
	v_pk_mul_f32 v[190:191], v[4:5], v[190:191]                // 00000000A5D0: D3B140BE 18037D04
	v_mov_b32_e32 v4, v40                                      // 00000000A5D8: 7E080328
	v_mov_b32_e32 v5, v4                                       // 00000000A5DC: 7E0A0304
	v_pk_mul_f32 v[96:97], v[4:5], v[96:97]                    // 00000000A5E0: D3B14060 1802C104
	v_pk_mul_f32 v[160:161], v[4:5], v[160:161]                // 00000000A5E8: D3B140A0 18034104
	v_pk_mul_f32 v[98:99], v[4:5], v[98:99]                    // 00000000A5F0: D3B14062 1802C504
	v_pk_mul_f32 v[162:163], v[4:5], v[162:163]                // 00000000A5F8: D3B140A2 18034504
	v_pk_mul_f32 v[128:129], v[4:5], v[128:129]                // 00000000A600: D3B14080 18030104
	v_pk_mul_f32 v[192:193], v[4:5], v[192:193]                // 00000000A608: D3B140C0 18038104
	v_pk_mul_f32 v[130:131], v[4:5], v[130:131]                // 00000000A610: D3B14082 18030504
	v_pk_mul_f32 v[194:195], v[4:5], v[194:195]                // 00000000A618: D3B140C2 18038504
	v_mov_b32_e32 v4, v41                                      // 00000000A620: 7E080329
	v_mov_b32_e32 v5, v4                                       // 00000000A624: 7E0A0304
	v_pk_mul_f32 v[100:101], v[4:5], v[100:101]                // 00000000A628: D3B14064 1802C904
	v_pk_mul_f32 v[164:165], v[4:5], v[164:165]                // 00000000A630: D3B140A4 18034904
	v_pk_mul_f32 v[102:103], v[4:5], v[102:103]                // 00000000A638: D3B14066 1802CD04
	v_pk_mul_f32 v[166:167], v[4:5], v[166:167]                // 00000000A640: D3B140A6 18034D04
	v_pk_mul_f32 v[132:133], v[4:5], v[132:133]                // 00000000A648: D3B14084 18030904
	v_pk_mul_f32 v[196:197], v[4:5], v[196:197]                // 00000000A650: D3B140C4 18038904
	v_pk_mul_f32 v[134:135], v[4:5], v[134:135]                // 00000000A658: D3B14086 18030D04
	v_pk_mul_f32 v[198:199], v[4:5], v[198:199]                // 00000000A660: D3B140C6 18038D04
	v_mov_b32_e32 v4, v42                                      // 00000000A668: 7E08032A
	v_mov_b32_e32 v5, v4                                       // 00000000A66C: 7E0A0304
	v_pk_mul_f32 v[104:105], v[4:5], v[104:105]                // 00000000A670: D3B14068 1802D104
	v_pk_mul_f32 v[168:169], v[4:5], v[168:169]                // 00000000A678: D3B140A8 18035104
	v_pk_mul_f32 v[106:107], v[4:5], v[106:107]                // 00000000A680: D3B1406A 1802D504
	v_pk_mul_f32 v[170:171], v[4:5], v[170:171]                // 00000000A688: D3B140AA 18035504
	v_pk_mul_f32 v[136:137], v[4:5], v[136:137]                // 00000000A690: D3B14088 18031104
	v_pk_mul_f32 v[200:201], v[4:5], v[200:201]                // 00000000A698: D3B140C8 18039104
	v_pk_mul_f32 v[138:139], v[4:5], v[138:139]                // 00000000A6A0: D3B1408A 18031504
	v_pk_mul_f32 v[202:203], v[4:5], v[202:203]                // 00000000A6A8: D3B140CA 18039504
	v_mov_b32_e32 v4, v43                                      // 00000000A6B0: 7E08032B
	v_mov_b32_e32 v5, v4                                       // 00000000A6B4: 7E0A0304
	v_pk_mul_f32 v[108:109], v[4:5], v[108:109]                // 00000000A6B8: D3B1406C 1802D904
	v_pk_mul_f32 v[172:173], v[4:5], v[172:173]                // 00000000A6C0: D3B140AC 18035904
	v_pk_mul_f32 v[110:111], v[4:5], v[110:111]                // 00000000A6C8: D3B1406E 1802DD04
	v_pk_mul_f32 v[174:175], v[4:5], v[174:175]                // 00000000A6D0: D3B140AE 18035D04
	v_pk_mul_f32 v[140:141], v[4:5], v[140:141]                // 00000000A6D8: D3B1408C 18031904
	v_pk_mul_f32 v[204:205], v[4:5], v[204:205]                // 00000000A6E0: D3B140CC 18039904
	v_pk_mul_f32 v[142:143], v[4:5], v[142:143]                // 00000000A6E8: D3B1408E 18031D04
	v_pk_mul_f32 v[206:207], v[4:5], v[206:207]                // 00000000A6F0: D3B140CE 18039D04
	s_cmp_eq_u32 s88, 0                                        // 00000000A6F8: BF068058
	s_cbranch_scc0 label_28A4                                  // 00000000A6FC: BF840961
	s_cmp_eq_u32 s89, 0                                        // 00000000A700: BF068059
	s_cbranch_scc1 label_21CA                                  // 00000000A704: BF850285
	v_mov_b32_e32 v8, v1                                       // 00000000A708: 7E100301
	v_mov_b32_e32 v9, v1                                       // 00000000A70C: 7E120301
	s_mov_b32 s60, s6                                          // 00000000A710: BEBC0006
	s_mov_b32 s61, s6                                          // 00000000A714: BEBD0006
	v_pk_mul_f32 v[4:5], v[80:81], v[80:81]                    // 00000000A718: D3B14004 1802A150
	v_pk_mul_f32 v[6:7], v[82:83], v[82:83]                    // 00000000A720: D3B14006 1802A552
	v_pk_fma_f32 v[4:5], v[4:5], s[78:79], v[8:9]              // 00000000A728: D3B04004 1C209D04
	v_pk_fma_f32 v[6:7], v[6:7], s[78:79], v[8:9]              // 00000000A730: D3B04006 1C209D06
	v_pk_mul_f32 v[4:5], v[4:5], v[80:81]                      // 00000000A738: D3B14004 1802A104
	v_pk_mul_f32 v[6:7], v[6:7], v[82:83]                      // 00000000A740: D3B14006 1802A506
	v_pk_mul_f32 v[4:5], v[4:5], s[60:61]                      // 00000000A748: D3B14004 18007904
	v_pk_mul_f32 v[6:7], v[6:7], s[60:61]                      // 00000000A750: D3B14006 18007906
	v_exp_f32_e32 v4, v4                                       // 00000000A758: 7E084104
	v_exp_f32_e32 v5, v5                                       // 00000000A75C: 7E0A4105
	v_exp_f32_e32 v6, v6                                       // 00000000A760: 7E0C4106
	v_exp_f32_e32 v7, v7                                       // 00000000A764: 7E0E4107
	v_add_f32_e64 v4, v4, 1.0                                  // 00000000A768: D1010004 0001E504
	v_add_f32_e64 v5, v5, 1.0                                  // 00000000A770: D1010005 0001E505
	v_add_f32_e64 v6, v6, 1.0                                  // 00000000A778: D1010006 0001E506
	v_add_f32_e64 v7, v7, 1.0                                  // 00000000A780: D1010007 0001E507
	v_rcp_f32_e32 v4, v4                                       // 00000000A788: 7E084504
	v_rcp_f32_e32 v5, v5                                       // 00000000A78C: 7E0A4505
	v_rcp_f32_e32 v6, v6                                       // 00000000A790: 7E0C4506
	v_rcp_f32_e32 v7, v7                                       // 00000000A794: 7E0E4507
	v_mul_f32_e32 v80, v80, v4                                 // 00000000A798: 0AA00950
	v_mul_f32_e32 v81, v81, v5                                 // 00000000A79C: 0AA20B51
	v_mul_f32_e32 v82, v82, v6                                 // 00000000A7A0: 0AA40D52
	v_mul_f32_e32 v83, v83, v7                                 // 00000000A7A4: 0AA60F53
	v_mul_f32_e32 v80, v80, v144                               // 00000000A7A8: 0AA12150
	v_mul_f32_e32 v81, v81, v145                               // 00000000A7AC: 0AA32351
	v_mul_f32_e32 v82, v82, v146                               // 00000000A7B0: 0AA52552
	v_mul_f32_e32 v83, v83, v147                               // 00000000A7B4: 0AA72753
	v_pk_mul_f32 v[4:5], v[84:85], v[84:85]                    // 00000000A7B8: D3B14004 1802A954
	v_pk_mul_f32 v[6:7], v[86:87], v[86:87]                    // 00000000A7C0: D3B14006 1802AD56
	v_pk_fma_f32 v[4:5], v[4:5], s[78:79], v[8:9]              // 00000000A7C8: D3B04004 1C209D04
	v_pk_fma_f32 v[6:7], v[6:7], s[78:79], v[8:9]              // 00000000A7D0: D3B04006 1C209D06
	v_pk_mul_f32 v[4:5], v[4:5], v[84:85]                      // 00000000A7D8: D3B14004 1802A904
	v_pk_mul_f32 v[6:7], v[6:7], v[86:87]                      // 00000000A7E0: D3B14006 1802AD06
	v_pk_mul_f32 v[4:5], v[4:5], s[60:61]                      // 00000000A7E8: D3B14004 18007904
	v_pk_mul_f32 v[6:7], v[6:7], s[60:61]                      // 00000000A7F0: D3B14006 18007906
	v_exp_f32_e32 v4, v4                                       // 00000000A7F8: 7E084104
	v_exp_f32_e32 v5, v5                                       // 00000000A7FC: 7E0A4105
	v_exp_f32_e32 v6, v6                                       // 00000000A800: 7E0C4106
	v_exp_f32_e32 v7, v7                                       // 00000000A804: 7E0E4107
	v_add_f32_e64 v4, v4, 1.0                                  // 00000000A808: D1010004 0001E504
	v_add_f32_e64 v5, v5, 1.0                                  // 00000000A810: D1010005 0001E505
	v_add_f32_e64 v6, v6, 1.0                                  // 00000000A818: D1010006 0001E506
	v_add_f32_e64 v7, v7, 1.0                                  // 00000000A820: D1010007 0001E507
	v_rcp_f32_e32 v4, v4                                       // 00000000A828: 7E084504
	v_rcp_f32_e32 v5, v5                                       // 00000000A82C: 7E0A4505
	v_rcp_f32_e32 v6, v6                                       // 00000000A830: 7E0C4506
	v_rcp_f32_e32 v7, v7                                       // 00000000A834: 7E0E4507
	v_mul_f32_e32 v84, v84, v4                                 // 00000000A838: 0AA80954
	v_mul_f32_e32 v85, v85, v5                                 // 00000000A83C: 0AAA0B55
	v_mul_f32_e32 v86, v86, v6                                 // 00000000A840: 0AAC0D56
	v_mul_f32_e32 v87, v87, v7                                 // 00000000A844: 0AAE0F57
	v_mul_f32_e32 v84, v84, v148                               // 00000000A848: 0AA92954
	v_mul_f32_e32 v85, v85, v149                               // 00000000A84C: 0AAB2B55
	v_mul_f32_e32 v86, v86, v150                               // 00000000A850: 0AAD2D56
	v_mul_f32_e32 v87, v87, v151                               // 00000000A854: 0AAF2F57
	v_pk_mul_f32 v[4:5], v[88:89], v[88:89]                    // 00000000A858: D3B14004 1802B158
	v_pk_mul_f32 v[6:7], v[90:91], v[90:91]                    // 00000000A860: D3B14006 1802B55A
	v_pk_fma_f32 v[4:5], v[4:5], s[78:79], v[8:9]              // 00000000A868: D3B04004 1C209D04
	v_pk_fma_f32 v[6:7], v[6:7], s[78:79], v[8:9]              // 00000000A870: D3B04006 1C209D06
	v_pk_mul_f32 v[4:5], v[4:5], v[88:89]                      // 00000000A878: D3B14004 1802B104
	v_pk_mul_f32 v[6:7], v[6:7], v[90:91]                      // 00000000A880: D3B14006 1802B506
	v_pk_mul_f32 v[4:5], v[4:5], s[60:61]                      // 00000000A888: D3B14004 18007904
	v_pk_mul_f32 v[6:7], v[6:7], s[60:61]                      // 00000000A890: D3B14006 18007906
	v_exp_f32_e32 v4, v4                                       // 00000000A898: 7E084104
	v_exp_f32_e32 v5, v5                                       // 00000000A89C: 7E0A4105
	v_exp_f32_e32 v6, v6                                       // 00000000A8A0: 7E0C4106
	v_exp_f32_e32 v7, v7                                       // 00000000A8A4: 7E0E4107
	v_add_f32_e64 v4, v4, 1.0                                  // 00000000A8A8: D1010004 0001E504
	v_add_f32_e64 v5, v5, 1.0                                  // 00000000A8B0: D1010005 0001E505
	v_add_f32_e64 v6, v6, 1.0                                  // 00000000A8B8: D1010006 0001E506
	v_add_f32_e64 v7, v7, 1.0                                  // 00000000A8C0: D1010007 0001E507
	v_rcp_f32_e32 v4, v4                                       // 00000000A8C8: 7E084504
	v_rcp_f32_e32 v5, v5                                       // 00000000A8CC: 7E0A4505
	v_rcp_f32_e32 v6, v6                                       // 00000000A8D0: 7E0C4506
	v_rcp_f32_e32 v7, v7                                       // 00000000A8D4: 7E0E4507
	v_mul_f32_e32 v88, v88, v4                                 // 00000000A8D8: 0AB00958
	v_mul_f32_e32 v89, v89, v5                                 // 00000000A8DC: 0AB20B59
	v_mul_f32_e32 v90, v90, v6                                 // 00000000A8E0: 0AB40D5A
	v_mul_f32_e32 v91, v91, v7                                 // 00000000A8E4: 0AB60F5B
	v_mul_f32_e32 v88, v88, v152                               // 00000000A8E8: 0AB13158
	v_mul_f32_e32 v89, v89, v153                               // 00000000A8EC: 0AB33359
	v_mul_f32_e32 v90, v90, v154                               // 00000000A8F0: 0AB5355A
	v_mul_f32_e32 v91, v91, v155                               // 00000000A8F4: 0AB7375B
	v_pk_mul_f32 v[4:5], v[92:93], v[92:93]                    // 00000000A8F8: D3B14004 1802B95C
	v_pk_mul_f32 v[6:7], v[94:95], v[94:95]                    // 00000000A900: D3B14006 1802BD5E
	v_pk_fma_f32 v[4:5], v[4:5], s[78:79], v[8:9]              // 00000000A908: D3B04004 1C209D04
	v_pk_fma_f32 v[6:7], v[6:7], s[78:79], v[8:9]              // 00000000A910: D3B04006 1C209D06
	v_pk_mul_f32 v[4:5], v[4:5], v[92:93]                      // 00000000A918: D3B14004 1802B904
	v_pk_mul_f32 v[6:7], v[6:7], v[94:95]                      // 00000000A920: D3B14006 1802BD06
	v_pk_mul_f32 v[4:5], v[4:5], s[60:61]                      // 00000000A928: D3B14004 18007904
	v_pk_mul_f32 v[6:7], v[6:7], s[60:61]                      // 00000000A930: D3B14006 18007906
	v_exp_f32_e32 v4, v4                                       // 00000000A938: 7E084104
	v_exp_f32_e32 v5, v5                                       // 00000000A93C: 7E0A4105
	v_exp_f32_e32 v6, v6                                       // 00000000A940: 7E0C4106
	v_exp_f32_e32 v7, v7                                       // 00000000A944: 7E0E4107
	v_add_f32_e64 v4, v4, 1.0                                  // 00000000A948: D1010004 0001E504
	v_add_f32_e64 v5, v5, 1.0                                  // 00000000A950: D1010005 0001E505
	v_add_f32_e64 v6, v6, 1.0                                  // 00000000A958: D1010006 0001E506
	v_add_f32_e64 v7, v7, 1.0                                  // 00000000A960: D1010007 0001E507
	v_rcp_f32_e32 v4, v4                                       // 00000000A968: 7E084504
	v_rcp_f32_e32 v5, v5                                       // 00000000A96C: 7E0A4505
	v_rcp_f32_e32 v6, v6                                       // 00000000A970: 7E0C4506
	v_rcp_f32_e32 v7, v7                                       // 00000000A974: 7E0E4507
	v_mul_f32_e32 v92, v92, v4                                 // 00000000A978: 0AB8095C
	v_mul_f32_e32 v93, v93, v5                                 // 00000000A97C: 0ABA0B5D
	v_mul_f32_e32 v94, v94, v6                                 // 00000000A980: 0ABC0D5E
	v_mul_f32_e32 v95, v95, v7                                 // 00000000A984: 0ABE0F5F
	v_mul_f32_e32 v92, v92, v156                               // 00000000A988: 0AB9395C
	v_mul_f32_e32 v93, v93, v157                               // 00000000A98C: 0ABB3B5D
	v_mul_f32_e32 v94, v94, v158                               // 00000000A990: 0ABD3D5E
	v_mul_f32_e32 v95, v95, v159                               // 00000000A994: 0ABF3F5F
	v_pk_mul_f32 v[4:5], v[96:97], v[96:97]                    // 00000000A998: D3B14004 1802C160
	v_pk_mul_f32 v[6:7], v[98:99], v[98:99]                    // 00000000A9A0: D3B14006 1802C562
	v_pk_fma_f32 v[4:5], v[4:5], s[78:79], v[8:9]              // 00000000A9A8: D3B04004 1C209D04
	v_pk_fma_f32 v[6:7], v[6:7], s[78:79], v[8:9]              // 00000000A9B0: D3B04006 1C209D06
	v_pk_mul_f32 v[4:5], v[4:5], v[96:97]                      // 00000000A9B8: D3B14004 1802C104
	v_pk_mul_f32 v[6:7], v[6:7], v[98:99]                      // 00000000A9C0: D3B14006 1802C506
	v_pk_mul_f32 v[4:5], v[4:5], s[60:61]                      // 00000000A9C8: D3B14004 18007904
	v_pk_mul_f32 v[6:7], v[6:7], s[60:61]                      // 00000000A9D0: D3B14006 18007906
	v_exp_f32_e32 v4, v4                                       // 00000000A9D8: 7E084104
	v_exp_f32_e32 v5, v5                                       // 00000000A9DC: 7E0A4105
	v_exp_f32_e32 v6, v6                                       // 00000000A9E0: 7E0C4106
	v_exp_f32_e32 v7, v7                                       // 00000000A9E4: 7E0E4107
	v_add_f32_e64 v4, v4, 1.0                                  // 00000000A9E8: D1010004 0001E504
	v_add_f32_e64 v5, v5, 1.0                                  // 00000000A9F0: D1010005 0001E505
	v_add_f32_e64 v6, v6, 1.0                                  // 00000000A9F8: D1010006 0001E506
	v_add_f32_e64 v7, v7, 1.0                                  // 00000000AA00: D1010007 0001E507
	v_rcp_f32_e32 v4, v4                                       // 00000000AA08: 7E084504
	v_rcp_f32_e32 v5, v5                                       // 00000000AA0C: 7E0A4505
	v_rcp_f32_e32 v6, v6                                       // 00000000AA10: 7E0C4506
	v_rcp_f32_e32 v7, v7                                       // 00000000AA14: 7E0E4507
	v_mul_f32_e32 v96, v96, v4                                 // 00000000AA18: 0AC00960
	v_mul_f32_e32 v97, v97, v5                                 // 00000000AA1C: 0AC20B61
	v_mul_f32_e32 v98, v98, v6                                 // 00000000AA20: 0AC40D62
	v_mul_f32_e32 v99, v99, v7                                 // 00000000AA24: 0AC60F63
	v_mul_f32_e32 v96, v96, v160                               // 00000000AA28: 0AC14160
	v_mul_f32_e32 v97, v97, v161                               // 00000000AA2C: 0AC34361
	v_mul_f32_e32 v98, v98, v162                               // 00000000AA30: 0AC54562
	v_mul_f32_e32 v99, v99, v163                               // 00000000AA34: 0AC74763
	v_pk_mul_f32 v[4:5], v[100:101], v[100:101]                // 00000000AA38: D3B14004 1802C964
	v_pk_mul_f32 v[6:7], v[102:103], v[102:103]                // 00000000AA40: D3B14006 1802CD66
	v_pk_fma_f32 v[4:5], v[4:5], s[78:79], v[8:9]              // 00000000AA48: D3B04004 1C209D04
	v_pk_fma_f32 v[6:7], v[6:7], s[78:79], v[8:9]              // 00000000AA50: D3B04006 1C209D06
	v_pk_mul_f32 v[4:5], v[4:5], v[100:101]                    // 00000000AA58: D3B14004 1802C904
	v_pk_mul_f32 v[6:7], v[6:7], v[102:103]                    // 00000000AA60: D3B14006 1802CD06
	v_pk_mul_f32 v[4:5], v[4:5], s[60:61]                      // 00000000AA68: D3B14004 18007904
	v_pk_mul_f32 v[6:7], v[6:7], s[60:61]                      // 00000000AA70: D3B14006 18007906
	v_exp_f32_e32 v4, v4                                       // 00000000AA78: 7E084104
	v_exp_f32_e32 v5, v5                                       // 00000000AA7C: 7E0A4105
	v_exp_f32_e32 v6, v6                                       // 00000000AA80: 7E0C4106
	v_exp_f32_e32 v7, v7                                       // 00000000AA84: 7E0E4107
	v_add_f32_e64 v4, v4, 1.0                                  // 00000000AA88: D1010004 0001E504
	v_add_f32_e64 v5, v5, 1.0                                  // 00000000AA90: D1010005 0001E505
	v_add_f32_e64 v6, v6, 1.0                                  // 00000000AA98: D1010006 0001E506
	v_add_f32_e64 v7, v7, 1.0                                  // 00000000AAA0: D1010007 0001E507
	v_rcp_f32_e32 v4, v4                                       // 00000000AAA8: 7E084504
	v_rcp_f32_e32 v5, v5                                       // 00000000AAAC: 7E0A4505
	v_rcp_f32_e32 v6, v6                                       // 00000000AAB0: 7E0C4506
	v_rcp_f32_e32 v7, v7                                       // 00000000AAB4: 7E0E4507
	v_mul_f32_e32 v100, v100, v4                               // 00000000AAB8: 0AC80964
	v_mul_f32_e32 v101, v101, v5                               // 00000000AABC: 0ACA0B65
	v_mul_f32_e32 v102, v102, v6                               // 00000000AAC0: 0ACC0D66
	v_mul_f32_e32 v103, v103, v7                               // 00000000AAC4: 0ACE0F67
	v_mul_f32_e32 v100, v100, v164                             // 00000000AAC8: 0AC94964
	v_mul_f32_e32 v101, v101, v165                             // 00000000AACC: 0ACB4B65
	v_mul_f32_e32 v102, v102, v166                             // 00000000AAD0: 0ACD4D66
	v_mul_f32_e32 v103, v103, v167                             // 00000000AAD4: 0ACF4F67
	v_pk_mul_f32 v[4:5], v[104:105], v[104:105]                // 00000000AAD8: D3B14004 1802D168
	v_pk_mul_f32 v[6:7], v[106:107], v[106:107]                // 00000000AAE0: D3B14006 1802D56A
	v_pk_fma_f32 v[4:5], v[4:5], s[78:79], v[8:9]              // 00000000AAE8: D3B04004 1C209D04
	v_pk_fma_f32 v[6:7], v[6:7], s[78:79], v[8:9]              // 00000000AAF0: D3B04006 1C209D06
	v_pk_mul_f32 v[4:5], v[4:5], v[104:105]                    // 00000000AAF8: D3B14004 1802D104
	v_pk_mul_f32 v[6:7], v[6:7], v[106:107]                    // 00000000AB00: D3B14006 1802D506
	v_pk_mul_f32 v[4:5], v[4:5], s[60:61]                      // 00000000AB08: D3B14004 18007904
	v_pk_mul_f32 v[6:7], v[6:7], s[60:61]                      // 00000000AB10: D3B14006 18007906
	v_exp_f32_e32 v4, v4                                       // 00000000AB18: 7E084104
	v_exp_f32_e32 v5, v5                                       // 00000000AB1C: 7E0A4105
	v_exp_f32_e32 v6, v6                                       // 00000000AB20: 7E0C4106
	v_exp_f32_e32 v7, v7                                       // 00000000AB24: 7E0E4107
	v_add_f32_e64 v4, v4, 1.0                                  // 00000000AB28: D1010004 0001E504
	v_add_f32_e64 v5, v5, 1.0                                  // 00000000AB30: D1010005 0001E505
	v_add_f32_e64 v6, v6, 1.0                                  // 00000000AB38: D1010006 0001E506
	v_add_f32_e64 v7, v7, 1.0                                  // 00000000AB40: D1010007 0001E507
	v_rcp_f32_e32 v4, v4                                       // 00000000AB48: 7E084504
	v_rcp_f32_e32 v5, v5                                       // 00000000AB4C: 7E0A4505
	v_rcp_f32_e32 v6, v6                                       // 00000000AB50: 7E0C4506
	v_rcp_f32_e32 v7, v7                                       // 00000000AB54: 7E0E4507
	v_mul_f32_e32 v104, v104, v4                               // 00000000AB58: 0AD00968
	v_mul_f32_e32 v105, v105, v5                               // 00000000AB5C: 0AD20B69
	v_mul_f32_e32 v106, v106, v6                               // 00000000AB60: 0AD40D6A
	v_mul_f32_e32 v107, v107, v7                               // 00000000AB64: 0AD60F6B
	v_mul_f32_e32 v104, v104, v168                             // 00000000AB68: 0AD15168
	v_mul_f32_e32 v105, v105, v169                             // 00000000AB6C: 0AD35369
	v_mul_f32_e32 v106, v106, v170                             // 00000000AB70: 0AD5556A
	v_mul_f32_e32 v107, v107, v171                             // 00000000AB74: 0AD7576B
	v_pk_mul_f32 v[4:5], v[108:109], v[108:109]                // 00000000AB78: D3B14004 1802D96C
	v_pk_mul_f32 v[6:7], v[110:111], v[110:111]                // 00000000AB80: D3B14006 1802DD6E
	v_pk_fma_f32 v[4:5], v[4:5], s[78:79], v[8:9]              // 00000000AB88: D3B04004 1C209D04
	v_pk_fma_f32 v[6:7], v[6:7], s[78:79], v[8:9]              // 00000000AB90: D3B04006 1C209D06
	v_pk_mul_f32 v[4:5], v[4:5], v[108:109]                    // 00000000AB98: D3B14004 1802D904
	v_pk_mul_f32 v[6:7], v[6:7], v[110:111]                    // 00000000ABA0: D3B14006 1802DD06
	v_pk_mul_f32 v[4:5], v[4:5], s[60:61]                      // 00000000ABA8: D3B14004 18007904
	v_pk_mul_f32 v[6:7], v[6:7], s[60:61]                      // 00000000ABB0: D3B14006 18007906
	v_exp_f32_e32 v4, v4                                       // 00000000ABB8: 7E084104
	v_exp_f32_e32 v5, v5                                       // 00000000ABBC: 7E0A4105
	v_exp_f32_e32 v6, v6                                       // 00000000ABC0: 7E0C4106
	v_exp_f32_e32 v7, v7                                       // 00000000ABC4: 7E0E4107
	v_add_f32_e64 v4, v4, 1.0                                  // 00000000ABC8: D1010004 0001E504
	v_add_f32_e64 v5, v5, 1.0                                  // 00000000ABD0: D1010005 0001E505
	v_add_f32_e64 v6, v6, 1.0                                  // 00000000ABD8: D1010006 0001E506
	v_add_f32_e64 v7, v7, 1.0                                  // 00000000ABE0: D1010007 0001E507
	v_rcp_f32_e32 v4, v4                                       // 00000000ABE8: 7E084504
	v_rcp_f32_e32 v5, v5                                       // 00000000ABEC: 7E0A4505
	v_rcp_f32_e32 v6, v6                                       // 00000000ABF0: 7E0C4506
	v_rcp_f32_e32 v7, v7                                       // 00000000ABF4: 7E0E4507
	v_mul_f32_e32 v108, v108, v4                               // 00000000ABF8: 0AD8096C
	v_mul_f32_e32 v109, v109, v5                               // 00000000ABFC: 0ADA0B6D
	v_mul_f32_e32 v110, v110, v6                               // 00000000AC00: 0ADC0D6E
	v_mul_f32_e32 v111, v111, v7                               // 00000000AC04: 0ADE0F6F
	v_mul_f32_e32 v108, v108, v172                             // 00000000AC08: 0AD9596C
	v_mul_f32_e32 v109, v109, v173                             // 00000000AC0C: 0ADB5B6D
	v_mul_f32_e32 v110, v110, v174                             // 00000000AC10: 0ADD5D6E
	v_mul_f32_e32 v111, v111, v175                             // 00000000AC14: 0ADF5F6F
	v_pk_mul_f32 v[4:5], v[112:113], v[112:113]                // 00000000AC18: D3B14004 1802E170
	v_pk_mul_f32 v[6:7], v[114:115], v[114:115]                // 00000000AC20: D3B14006 1802E572
	v_pk_fma_f32 v[4:5], v[4:5], s[78:79], v[8:9]              // 00000000AC28: D3B04004 1C209D04
	v_pk_fma_f32 v[6:7], v[6:7], s[78:79], v[8:9]              // 00000000AC30: D3B04006 1C209D06
	v_pk_mul_f32 v[4:5], v[4:5], v[112:113]                    // 00000000AC38: D3B14004 1802E104
	v_pk_mul_f32 v[6:7], v[6:7], v[114:115]                    // 00000000AC40: D3B14006 1802E506
	v_pk_mul_f32 v[4:5], v[4:5], s[60:61]                      // 00000000AC48: D3B14004 18007904
	v_pk_mul_f32 v[6:7], v[6:7], s[60:61]                      // 00000000AC50: D3B14006 18007906
	v_exp_f32_e32 v4, v4                                       // 00000000AC58: 7E084104
	v_exp_f32_e32 v5, v5                                       // 00000000AC5C: 7E0A4105
	v_exp_f32_e32 v6, v6                                       // 00000000AC60: 7E0C4106
	v_exp_f32_e32 v7, v7                                       // 00000000AC64: 7E0E4107
	v_add_f32_e64 v4, v4, 1.0                                  // 00000000AC68: D1010004 0001E504
	v_add_f32_e64 v5, v5, 1.0                                  // 00000000AC70: D1010005 0001E505
	v_add_f32_e64 v6, v6, 1.0                                  // 00000000AC78: D1010006 0001E506
	v_add_f32_e64 v7, v7, 1.0                                  // 00000000AC80: D1010007 0001E507
	v_rcp_f32_e32 v4, v4                                       // 00000000AC88: 7E084504
	v_rcp_f32_e32 v5, v5                                       // 00000000AC8C: 7E0A4505
	v_rcp_f32_e32 v6, v6                                       // 00000000AC90: 7E0C4506
	v_rcp_f32_e32 v7, v7                                       // 00000000AC94: 7E0E4507
	v_mul_f32_e32 v112, v112, v4                               // 00000000AC98: 0AE00970
	v_mul_f32_e32 v113, v113, v5                               // 00000000AC9C: 0AE20B71
	v_mul_f32_e32 v114, v114, v6                               // 00000000ACA0: 0AE40D72
	v_mul_f32_e32 v115, v115, v7                               // 00000000ACA4: 0AE60F73
	v_mul_f32_e32 v112, v112, v176                             // 00000000ACA8: 0AE16170
	v_mul_f32_e32 v113, v113, v177                             // 00000000ACAC: 0AE36371
	v_mul_f32_e32 v114, v114, v178                             // 00000000ACB0: 0AE56572
	v_mul_f32_e32 v115, v115, v179                             // 00000000ACB4: 0AE76773
	v_pk_mul_f32 v[4:5], v[116:117], v[116:117]                // 00000000ACB8: D3B14004 1802E974
	v_pk_mul_f32 v[6:7], v[118:119], v[118:119]                // 00000000ACC0: D3B14006 1802ED76
	v_pk_fma_f32 v[4:5], v[4:5], s[78:79], v[8:9]              // 00000000ACC8: D3B04004 1C209D04
	v_pk_fma_f32 v[6:7], v[6:7], s[78:79], v[8:9]              // 00000000ACD0: D3B04006 1C209D06
	v_pk_mul_f32 v[4:5], v[4:5], v[116:117]                    // 00000000ACD8: D3B14004 1802E904
	v_pk_mul_f32 v[6:7], v[6:7], v[118:119]                    // 00000000ACE0: D3B14006 1802ED06
	v_pk_mul_f32 v[4:5], v[4:5], s[60:61]                      // 00000000ACE8: D3B14004 18007904
	v_pk_mul_f32 v[6:7], v[6:7], s[60:61]                      // 00000000ACF0: D3B14006 18007906
	v_exp_f32_e32 v4, v4                                       // 00000000ACF8: 7E084104
	v_exp_f32_e32 v5, v5                                       // 00000000ACFC: 7E0A4105
	v_exp_f32_e32 v6, v6                                       // 00000000AD00: 7E0C4106
	v_exp_f32_e32 v7, v7                                       // 00000000AD04: 7E0E4107
	v_add_f32_e64 v4, v4, 1.0                                  // 00000000AD08: D1010004 0001E504
	v_add_f32_e64 v5, v5, 1.0                                  // 00000000AD10: D1010005 0001E505
	v_add_f32_e64 v6, v6, 1.0                                  // 00000000AD18: D1010006 0001E506
	v_add_f32_e64 v7, v7, 1.0                                  // 00000000AD20: D1010007 0001E507
	v_rcp_f32_e32 v4, v4                                       // 00000000AD28: 7E084504
	v_rcp_f32_e32 v5, v5                                       // 00000000AD2C: 7E0A4505
	v_rcp_f32_e32 v6, v6                                       // 00000000AD30: 7E0C4506
	v_rcp_f32_e32 v7, v7                                       // 00000000AD34: 7E0E4507
	v_mul_f32_e32 v116, v116, v4                               // 00000000AD38: 0AE80974
	v_mul_f32_e32 v117, v117, v5                               // 00000000AD3C: 0AEA0B75
	v_mul_f32_e32 v118, v118, v6                               // 00000000AD40: 0AEC0D76
	v_mul_f32_e32 v119, v119, v7                               // 00000000AD44: 0AEE0F77
	v_mul_f32_e32 v116, v116, v180                             // 00000000AD48: 0AE96974
	v_mul_f32_e32 v117, v117, v181                             // 00000000AD4C: 0AEB6B75
	v_mul_f32_e32 v118, v118, v182                             // 00000000AD50: 0AED6D76
	v_mul_f32_e32 v119, v119, v183                             // 00000000AD54: 0AEF6F77
	v_pk_mul_f32 v[4:5], v[120:121], v[120:121]                // 00000000AD58: D3B14004 1802F178
	v_pk_mul_f32 v[6:7], v[122:123], v[122:123]                // 00000000AD60: D3B14006 1802F57A
	v_pk_fma_f32 v[4:5], v[4:5], s[78:79], v[8:9]              // 00000000AD68: D3B04004 1C209D04
	v_pk_fma_f32 v[6:7], v[6:7], s[78:79], v[8:9]              // 00000000AD70: D3B04006 1C209D06
	v_pk_mul_f32 v[4:5], v[4:5], v[120:121]                    // 00000000AD78: D3B14004 1802F104
	v_pk_mul_f32 v[6:7], v[6:7], v[122:123]                    // 00000000AD80: D3B14006 1802F506
	v_pk_mul_f32 v[4:5], v[4:5], s[60:61]                      // 00000000AD88: D3B14004 18007904
	v_pk_mul_f32 v[6:7], v[6:7], s[60:61]                      // 00000000AD90: D3B14006 18007906
	v_exp_f32_e32 v4, v4                                       // 00000000AD98: 7E084104
	v_exp_f32_e32 v5, v5                                       // 00000000AD9C: 7E0A4105
	v_exp_f32_e32 v6, v6                                       // 00000000ADA0: 7E0C4106
	v_exp_f32_e32 v7, v7                                       // 00000000ADA4: 7E0E4107
	v_add_f32_e64 v4, v4, 1.0                                  // 00000000ADA8: D1010004 0001E504
	v_add_f32_e64 v5, v5, 1.0                                  // 00000000ADB0: D1010005 0001E505
	v_add_f32_e64 v6, v6, 1.0                                  // 00000000ADB8: D1010006 0001E506
	v_add_f32_e64 v7, v7, 1.0                                  // 00000000ADC0: D1010007 0001E507
	v_rcp_f32_e32 v4, v4                                       // 00000000ADC8: 7E084504
	v_rcp_f32_e32 v5, v5                                       // 00000000ADCC: 7E0A4505
	v_rcp_f32_e32 v6, v6                                       // 00000000ADD0: 7E0C4506
	v_rcp_f32_e32 v7, v7                                       // 00000000ADD4: 7E0E4507
	v_mul_f32_e32 v120, v120, v4                               // 00000000ADD8: 0AF00978
	v_mul_f32_e32 v121, v121, v5                               // 00000000ADDC: 0AF20B79
	v_mul_f32_e32 v122, v122, v6                               // 00000000ADE0: 0AF40D7A
	v_mul_f32_e32 v123, v123, v7                               // 00000000ADE4: 0AF60F7B
	v_mul_f32_e32 v120, v120, v184                             // 00000000ADE8: 0AF17178
	v_mul_f32_e32 v121, v121, v185                             // 00000000ADEC: 0AF37379
	v_mul_f32_e32 v122, v122, v186                             // 00000000ADF0: 0AF5757A
	v_mul_f32_e32 v123, v123, v187                             // 00000000ADF4: 0AF7777B
	v_pk_mul_f32 v[4:5], v[124:125], v[124:125]                // 00000000ADF8: D3B14004 1802F97C
	v_pk_mul_f32 v[6:7], v[126:127], v[126:127]                // 00000000AE00: D3B14006 1802FD7E
	v_pk_fma_f32 v[4:5], v[4:5], s[78:79], v[8:9]              // 00000000AE08: D3B04004 1C209D04
	v_pk_fma_f32 v[6:7], v[6:7], s[78:79], v[8:9]              // 00000000AE10: D3B04006 1C209D06
	v_pk_mul_f32 v[4:5], v[4:5], v[124:125]                    // 00000000AE18: D3B14004 1802F904
	v_pk_mul_f32 v[6:7], v[6:7], v[126:127]                    // 00000000AE20: D3B14006 1802FD06
	v_pk_mul_f32 v[4:5], v[4:5], s[60:61]                      // 00000000AE28: D3B14004 18007904
	v_pk_mul_f32 v[6:7], v[6:7], s[60:61]                      // 00000000AE30: D3B14006 18007906
	v_exp_f32_e32 v4, v4                                       // 00000000AE38: 7E084104
	v_exp_f32_e32 v5, v5                                       // 00000000AE3C: 7E0A4105
	v_exp_f32_e32 v6, v6                                       // 00000000AE40: 7E0C4106
	v_exp_f32_e32 v7, v7                                       // 00000000AE44: 7E0E4107
	v_add_f32_e64 v4, v4, 1.0                                  // 00000000AE48: D1010004 0001E504
	v_add_f32_e64 v5, v5, 1.0                                  // 00000000AE50: D1010005 0001E505
	v_add_f32_e64 v6, v6, 1.0                                  // 00000000AE58: D1010006 0001E506
	v_add_f32_e64 v7, v7, 1.0                                  // 00000000AE60: D1010007 0001E507
	v_rcp_f32_e32 v4, v4                                       // 00000000AE68: 7E084504
	v_rcp_f32_e32 v5, v5                                       // 00000000AE6C: 7E0A4505
	v_rcp_f32_e32 v6, v6                                       // 00000000AE70: 7E0C4506
	v_rcp_f32_e32 v7, v7                                       // 00000000AE74: 7E0E4507
	v_mul_f32_e32 v124, v124, v4                               // 00000000AE78: 0AF8097C
	v_mul_f32_e32 v125, v125, v5                               // 00000000AE7C: 0AFA0B7D
	v_mul_f32_e32 v126, v126, v6                               // 00000000AE80: 0AFC0D7E
	v_mul_f32_e32 v127, v127, v7                               // 00000000AE84: 0AFE0F7F
	v_mul_f32_e32 v124, v124, v188                             // 00000000AE88: 0AF9797C
	v_mul_f32_e32 v125, v125, v189                             // 00000000AE8C: 0AFB7B7D
	v_mul_f32_e32 v126, v126, v190                             // 00000000AE90: 0AFD7D7E
	v_mul_f32_e32 v127, v127, v191                             // 00000000AE94: 0AFF7F7F
	v_pk_mul_f32 v[4:5], v[128:129], v[128:129]                // 00000000AE98: D3B14004 18030180
	v_pk_mul_f32 v[6:7], v[130:131], v[130:131]                // 00000000AEA0: D3B14006 18030582
	v_pk_fma_f32 v[4:5], v[4:5], s[78:79], v[8:9]              // 00000000AEA8: D3B04004 1C209D04
	v_pk_fma_f32 v[6:7], v[6:7], s[78:79], v[8:9]              // 00000000AEB0: D3B04006 1C209D06
	v_pk_mul_f32 v[4:5], v[4:5], v[128:129]                    // 00000000AEB8: D3B14004 18030104
	v_pk_mul_f32 v[6:7], v[6:7], v[130:131]                    // 00000000AEC0: D3B14006 18030506
	v_pk_mul_f32 v[4:5], v[4:5], s[60:61]                      // 00000000AEC8: D3B14004 18007904
	v_pk_mul_f32 v[6:7], v[6:7], s[60:61]                      // 00000000AED0: D3B14006 18007906
	v_exp_f32_e32 v4, v4                                       // 00000000AED8: 7E084104
	v_exp_f32_e32 v5, v5                                       // 00000000AEDC: 7E0A4105
	v_exp_f32_e32 v6, v6                                       // 00000000AEE0: 7E0C4106
	v_exp_f32_e32 v7, v7                                       // 00000000AEE4: 7E0E4107
	v_add_f32_e64 v4, v4, 1.0                                  // 00000000AEE8: D1010004 0001E504
	v_add_f32_e64 v5, v5, 1.0                                  // 00000000AEF0: D1010005 0001E505
	v_add_f32_e64 v6, v6, 1.0                                  // 00000000AEF8: D1010006 0001E506
	v_add_f32_e64 v7, v7, 1.0                                  // 00000000AF00: D1010007 0001E507
	v_rcp_f32_e32 v4, v4                                       // 00000000AF08: 7E084504
	v_rcp_f32_e32 v5, v5                                       // 00000000AF0C: 7E0A4505
	v_rcp_f32_e32 v6, v6                                       // 00000000AF10: 7E0C4506
	v_rcp_f32_e32 v7, v7                                       // 00000000AF14: 7E0E4507
	v_mul_f32_e32 v128, v128, v4                               // 00000000AF18: 0B000980
	v_mul_f32_e32 v129, v129, v5                               // 00000000AF1C: 0B020B81
	v_mul_f32_e32 v130, v130, v6                               // 00000000AF20: 0B040D82
	v_mul_f32_e32 v131, v131, v7                               // 00000000AF24: 0B060F83
	v_mul_f32_e32 v128, v128, v192                             // 00000000AF28: 0B018180
	v_mul_f32_e32 v129, v129, v193                             // 00000000AF2C: 0B038381
	v_mul_f32_e32 v130, v130, v194                             // 00000000AF30: 0B058582
	v_mul_f32_e32 v131, v131, v195                             // 00000000AF34: 0B078783
	v_pk_mul_f32 v[4:5], v[132:133], v[132:133]                // 00000000AF38: D3B14004 18030984
	v_pk_mul_f32 v[6:7], v[134:135], v[134:135]                // 00000000AF40: D3B14006 18030D86
	v_pk_fma_f32 v[4:5], v[4:5], s[78:79], v[8:9]              // 00000000AF48: D3B04004 1C209D04
	v_pk_fma_f32 v[6:7], v[6:7], s[78:79], v[8:9]              // 00000000AF50: D3B04006 1C209D06
	v_pk_mul_f32 v[4:5], v[4:5], v[132:133]                    // 00000000AF58: D3B14004 18030904
	v_pk_mul_f32 v[6:7], v[6:7], v[134:135]                    // 00000000AF60: D3B14006 18030D06
	v_pk_mul_f32 v[4:5], v[4:5], s[60:61]                      // 00000000AF68: D3B14004 18007904
	v_pk_mul_f32 v[6:7], v[6:7], s[60:61]                      // 00000000AF70: D3B14006 18007906
	v_exp_f32_e32 v4, v4                                       // 00000000AF78: 7E084104
	v_exp_f32_e32 v5, v5                                       // 00000000AF7C: 7E0A4105
	v_exp_f32_e32 v6, v6                                       // 00000000AF80: 7E0C4106
	v_exp_f32_e32 v7, v7                                       // 00000000AF84: 7E0E4107
	v_add_f32_e64 v4, v4, 1.0                                  // 00000000AF88: D1010004 0001E504
	v_add_f32_e64 v5, v5, 1.0                                  // 00000000AF90: D1010005 0001E505
	v_add_f32_e64 v6, v6, 1.0                                  // 00000000AF98: D1010006 0001E506
	v_add_f32_e64 v7, v7, 1.0                                  // 00000000AFA0: D1010007 0001E507
	v_rcp_f32_e32 v4, v4                                       // 00000000AFA8: 7E084504
	v_rcp_f32_e32 v5, v5                                       // 00000000AFAC: 7E0A4505
	v_rcp_f32_e32 v6, v6                                       // 00000000AFB0: 7E0C4506
	v_rcp_f32_e32 v7, v7                                       // 00000000AFB4: 7E0E4507
	v_mul_f32_e32 v132, v132, v4                               // 00000000AFB8: 0B080984
	v_mul_f32_e32 v133, v133, v5                               // 00000000AFBC: 0B0A0B85
	v_mul_f32_e32 v134, v134, v6                               // 00000000AFC0: 0B0C0D86
	v_mul_f32_e32 v135, v135, v7                               // 00000000AFC4: 0B0E0F87
	v_mul_f32_e32 v132, v132, v196                             // 00000000AFC8: 0B098984
	v_mul_f32_e32 v133, v133, v197                             // 00000000AFCC: 0B0B8B85
	v_mul_f32_e32 v134, v134, v198                             // 00000000AFD0: 0B0D8D86
	v_mul_f32_e32 v135, v135, v199                             // 00000000AFD4: 0B0F8F87
	v_pk_mul_f32 v[4:5], v[136:137], v[136:137]                // 00000000AFD8: D3B14004 18031188
	v_pk_mul_f32 v[6:7], v[138:139], v[138:139]                // 00000000AFE0: D3B14006 1803158A
	v_pk_fma_f32 v[4:5], v[4:5], s[78:79], v[8:9]              // 00000000AFE8: D3B04004 1C209D04
	v_pk_fma_f32 v[6:7], v[6:7], s[78:79], v[8:9]              // 00000000AFF0: D3B04006 1C209D06
	v_pk_mul_f32 v[4:5], v[4:5], v[136:137]                    // 00000000AFF8: D3B14004 18031104
	v_pk_mul_f32 v[6:7], v[6:7], v[138:139]                    // 00000000B000: D3B14006 18031506
	v_pk_mul_f32 v[4:5], v[4:5], s[60:61]                      // 00000000B008: D3B14004 18007904
	v_pk_mul_f32 v[6:7], v[6:7], s[60:61]                      // 00000000B010: D3B14006 18007906
	v_exp_f32_e32 v4, v4                                       // 00000000B018: 7E084104
	v_exp_f32_e32 v5, v5                                       // 00000000B01C: 7E0A4105
	v_exp_f32_e32 v6, v6                                       // 00000000B020: 7E0C4106
	v_exp_f32_e32 v7, v7                                       // 00000000B024: 7E0E4107
	v_add_f32_e64 v4, v4, 1.0                                  // 00000000B028: D1010004 0001E504
	v_add_f32_e64 v5, v5, 1.0                                  // 00000000B030: D1010005 0001E505
	v_add_f32_e64 v6, v6, 1.0                                  // 00000000B038: D1010006 0001E506
	v_add_f32_e64 v7, v7, 1.0                                  // 00000000B040: D1010007 0001E507
	v_rcp_f32_e32 v4, v4                                       // 00000000B048: 7E084504
	v_rcp_f32_e32 v5, v5                                       // 00000000B04C: 7E0A4505
	v_rcp_f32_e32 v6, v6                                       // 00000000B050: 7E0C4506
	v_rcp_f32_e32 v7, v7                                       // 00000000B054: 7E0E4507
	v_mul_f32_e32 v136, v136, v4                               // 00000000B058: 0B100988
	v_mul_f32_e32 v137, v137, v5                               // 00000000B05C: 0B120B89
	v_mul_f32_e32 v138, v138, v6                               // 00000000B060: 0B140D8A
	v_mul_f32_e32 v139, v139, v7                               // 00000000B064: 0B160F8B
	v_mul_f32_e32 v136, v136, v200                             // 00000000B068: 0B119188
	v_mul_f32_e32 v137, v137, v201                             // 00000000B06C: 0B139389
	v_mul_f32_e32 v138, v138, v202                             // 00000000B070: 0B15958A
	v_mul_f32_e32 v139, v139, v203                             // 00000000B074: 0B17978B
	v_pk_mul_f32 v[4:5], v[140:141], v[140:141]                // 00000000B078: D3B14004 1803198C
	v_pk_mul_f32 v[6:7], v[142:143], v[142:143]                // 00000000B080: D3B14006 18031D8E
	v_pk_fma_f32 v[4:5], v[4:5], s[78:79], v[8:9]              // 00000000B088: D3B04004 1C209D04
	v_pk_fma_f32 v[6:7], v[6:7], s[78:79], v[8:9]              // 00000000B090: D3B04006 1C209D06
	v_pk_mul_f32 v[4:5], v[4:5], v[140:141]                    // 00000000B098: D3B14004 18031904
	v_pk_mul_f32 v[6:7], v[6:7], v[142:143]                    // 00000000B0A0: D3B14006 18031D06
	v_pk_mul_f32 v[4:5], v[4:5], s[60:61]                      // 00000000B0A8: D3B14004 18007904
	v_pk_mul_f32 v[6:7], v[6:7], s[60:61]                      // 00000000B0B0: D3B14006 18007906
	v_exp_f32_e32 v4, v4                                       // 00000000B0B8: 7E084104
	v_exp_f32_e32 v5, v5                                       // 00000000B0BC: 7E0A4105
	v_exp_f32_e32 v6, v6                                       // 00000000B0C0: 7E0C4106
	v_exp_f32_e32 v7, v7                                       // 00000000B0C4: 7E0E4107
	v_add_f32_e64 v4, v4, 1.0                                  // 00000000B0C8: D1010004 0001E504
	v_add_f32_e64 v5, v5, 1.0                                  // 00000000B0D0: D1010005 0001E505
	v_add_f32_e64 v6, v6, 1.0                                  // 00000000B0D8: D1010006 0001E506
	v_add_f32_e64 v7, v7, 1.0                                  // 00000000B0E0: D1010007 0001E507
	v_rcp_f32_e32 v4, v4                                       // 00000000B0E8: 7E084504
	v_rcp_f32_e32 v5, v5                                       // 00000000B0EC: 7E0A4505
	v_rcp_f32_e32 v6, v6                                       // 00000000B0F0: 7E0C4506
	v_rcp_f32_e32 v7, v7                                       // 00000000B0F4: 7E0E4507
	v_mul_f32_e32 v140, v140, v4                               // 00000000B0F8: 0B18098C
	v_mul_f32_e32 v141, v141, v5                               // 00000000B0FC: 0B1A0B8D
	v_mul_f32_e32 v142, v142, v6                               // 00000000B100: 0B1C0D8E
	v_mul_f32_e32 v143, v143, v7                               // 00000000B104: 0B1E0F8F
	v_mul_f32_e32 v140, v140, v204                             // 00000000B108: 0B19998C
	v_mul_f32_e32 v141, v141, v205                             // 00000000B10C: 0B1B9B8D
	v_mul_f32_e32 v142, v142, v206                             // 00000000B110: 0B1D9D8E
	v_mul_f32_e32 v143, v143, v207                             // 00000000B114: 0B1F9F8F
	s_branch label_23CA                                        // 00000000B118: BF820200

000000000000b11c <label_21CA>:
	v_mul_f32_e64 v4, -v80, s6                                 // 00000000B11C: D1050004 20000D50
	v_mul_f32_e64 v5, -v81, s6                                 // 00000000B124: D1050005 20000D51
	v_mul_f32_e64 v6, -v82, s6                                 // 00000000B12C: D1050006 20000D52
	v_mul_f32_e64 v7, -v83, s6                                 // 00000000B134: D1050007 20000D53
	v_exp_f32_e32 v4, v4                                       // 00000000B13C: 7E084104
	v_exp_f32_e32 v5, v5                                       // 00000000B140: 7E0A4105
	v_exp_f32_e32 v6, v6                                       // 00000000B144: 7E0C4106
	v_exp_f32_e32 v7, v7                                       // 00000000B148: 7E0E4107
	v_add_f32_e64 v4, v4, 1.0                                  // 00000000B14C: D1010004 0001E504
	v_add_f32_e64 v5, v5, 1.0                                  // 00000000B154: D1010005 0001E505
	v_add_f32_e64 v6, v6, 1.0                                  // 00000000B15C: D1010006 0001E506
	v_add_f32_e64 v7, v7, 1.0                                  // 00000000B164: D1010007 0001E507
	v_rcp_f32_e32 v4, v4                                       // 00000000B16C: 7E084504
	v_rcp_f32_e32 v5, v5                                       // 00000000B170: 7E0A4505
	v_rcp_f32_e32 v6, v6                                       // 00000000B174: 7E0C4506
	v_rcp_f32_e32 v7, v7                                       // 00000000B178: 7E0E4507
	v_mul_f32_e32 v80, v80, v4                                 // 00000000B17C: 0AA00950
	v_mul_f32_e32 v81, v81, v5                                 // 00000000B180: 0AA20B51
	v_mul_f32_e32 v82, v82, v6                                 // 00000000B184: 0AA40D52
	v_mul_f32_e32 v83, v83, v7                                 // 00000000B188: 0AA60F53
	v_mul_f32_e32 v80, v80, v144                               // 00000000B18C: 0AA12150
	v_mul_f32_e32 v81, v81, v145                               // 00000000B190: 0AA32351
	v_mul_f32_e32 v82, v82, v146                               // 00000000B194: 0AA52552
	v_mul_f32_e32 v83, v83, v147                               // 00000000B198: 0AA72753
	v_mul_f32_e64 v4, -v84, s6                                 // 00000000B19C: D1050004 20000D54
	v_mul_f32_e64 v5, -v85, s6                                 // 00000000B1A4: D1050005 20000D55
	v_mul_f32_e64 v6, -v86, s6                                 // 00000000B1AC: D1050006 20000D56
	v_mul_f32_e64 v7, -v87, s6                                 // 00000000B1B4: D1050007 20000D57
	v_exp_f32_e32 v4, v4                                       // 00000000B1BC: 7E084104
	v_exp_f32_e32 v5, v5                                       // 00000000B1C0: 7E0A4105
	v_exp_f32_e32 v6, v6                                       // 00000000B1C4: 7E0C4106
	v_exp_f32_e32 v7, v7                                       // 00000000B1C8: 7E0E4107
	v_add_f32_e64 v4, v4, 1.0                                  // 00000000B1CC: D1010004 0001E504
	v_add_f32_e64 v5, v5, 1.0                                  // 00000000B1D4: D1010005 0001E505
	v_add_f32_e64 v6, v6, 1.0                                  // 00000000B1DC: D1010006 0001E506
	v_add_f32_e64 v7, v7, 1.0                                  // 00000000B1E4: D1010007 0001E507
	v_rcp_f32_e32 v4, v4                                       // 00000000B1EC: 7E084504
	v_rcp_f32_e32 v5, v5                                       // 00000000B1F0: 7E0A4505
	v_rcp_f32_e32 v6, v6                                       // 00000000B1F4: 7E0C4506
	v_rcp_f32_e32 v7, v7                                       // 00000000B1F8: 7E0E4507
	v_mul_f32_e32 v84, v84, v4                                 // 00000000B1FC: 0AA80954
	v_mul_f32_e32 v85, v85, v5                                 // 00000000B200: 0AAA0B55
	v_mul_f32_e32 v86, v86, v6                                 // 00000000B204: 0AAC0D56
	v_mul_f32_e32 v87, v87, v7                                 // 00000000B208: 0AAE0F57
	v_mul_f32_e32 v84, v84, v148                               // 00000000B20C: 0AA92954
	v_mul_f32_e32 v85, v85, v149                               // 00000000B210: 0AAB2B55
	v_mul_f32_e32 v86, v86, v150                               // 00000000B214: 0AAD2D56
	v_mul_f32_e32 v87, v87, v151                               // 00000000B218: 0AAF2F57
	v_mul_f32_e64 v4, -v88, s6                                 // 00000000B21C: D1050004 20000D58
	v_mul_f32_e64 v5, -v89, s6                                 // 00000000B224: D1050005 20000D59
	v_mul_f32_e64 v6, -v90, s6                                 // 00000000B22C: D1050006 20000D5A
	v_mul_f32_e64 v7, -v91, s6                                 // 00000000B234: D1050007 20000D5B
	v_exp_f32_e32 v4, v4                                       // 00000000B23C: 7E084104
	v_exp_f32_e32 v5, v5                                       // 00000000B240: 7E0A4105
	v_exp_f32_e32 v6, v6                                       // 00000000B244: 7E0C4106
	v_exp_f32_e32 v7, v7                                       // 00000000B248: 7E0E4107
	v_add_f32_e64 v4, v4, 1.0                                  // 00000000B24C: D1010004 0001E504
	v_add_f32_e64 v5, v5, 1.0                                  // 00000000B254: D1010005 0001E505
	v_add_f32_e64 v6, v6, 1.0                                  // 00000000B25C: D1010006 0001E506
	v_add_f32_e64 v7, v7, 1.0                                  // 00000000B264: D1010007 0001E507
	v_rcp_f32_e32 v4, v4                                       // 00000000B26C: 7E084504
	v_rcp_f32_e32 v5, v5                                       // 00000000B270: 7E0A4505
	v_rcp_f32_e32 v6, v6                                       // 00000000B274: 7E0C4506
	v_rcp_f32_e32 v7, v7                                       // 00000000B278: 7E0E4507
	v_mul_f32_e32 v88, v88, v4                                 // 00000000B27C: 0AB00958
	v_mul_f32_e32 v89, v89, v5                                 // 00000000B280: 0AB20B59
	v_mul_f32_e32 v90, v90, v6                                 // 00000000B284: 0AB40D5A
	v_mul_f32_e32 v91, v91, v7                                 // 00000000B288: 0AB60F5B
	v_mul_f32_e32 v88, v88, v152                               // 00000000B28C: 0AB13158
	v_mul_f32_e32 v89, v89, v153                               // 00000000B290: 0AB33359
	v_mul_f32_e32 v90, v90, v154                               // 00000000B294: 0AB5355A
	v_mul_f32_e32 v91, v91, v155                               // 00000000B298: 0AB7375B
	v_mul_f32_e64 v4, -v92, s6                                 // 00000000B29C: D1050004 20000D5C
	v_mul_f32_e64 v5, -v93, s6                                 // 00000000B2A4: D1050005 20000D5D
	v_mul_f32_e64 v6, -v94, s6                                 // 00000000B2AC: D1050006 20000D5E
	v_mul_f32_e64 v7, -v95, s6                                 // 00000000B2B4: D1050007 20000D5F
	v_exp_f32_e32 v4, v4                                       // 00000000B2BC: 7E084104
	v_exp_f32_e32 v5, v5                                       // 00000000B2C0: 7E0A4105
	v_exp_f32_e32 v6, v6                                       // 00000000B2C4: 7E0C4106
	v_exp_f32_e32 v7, v7                                       // 00000000B2C8: 7E0E4107
	v_add_f32_e64 v4, v4, 1.0                                  // 00000000B2CC: D1010004 0001E504
	v_add_f32_e64 v5, v5, 1.0                                  // 00000000B2D4: D1010005 0001E505
	v_add_f32_e64 v6, v6, 1.0                                  // 00000000B2DC: D1010006 0001E506
	v_add_f32_e64 v7, v7, 1.0                                  // 00000000B2E4: D1010007 0001E507
	v_rcp_f32_e32 v4, v4                                       // 00000000B2EC: 7E084504
	v_rcp_f32_e32 v5, v5                                       // 00000000B2F0: 7E0A4505
	v_rcp_f32_e32 v6, v6                                       // 00000000B2F4: 7E0C4506
	v_rcp_f32_e32 v7, v7                                       // 00000000B2F8: 7E0E4507
	v_mul_f32_e32 v92, v92, v4                                 // 00000000B2FC: 0AB8095C
	v_mul_f32_e32 v93, v93, v5                                 // 00000000B300: 0ABA0B5D
	v_mul_f32_e32 v94, v94, v6                                 // 00000000B304: 0ABC0D5E
	v_mul_f32_e32 v95, v95, v7                                 // 00000000B308: 0ABE0F5F
	v_mul_f32_e32 v92, v92, v156                               // 00000000B30C: 0AB9395C
	v_mul_f32_e32 v93, v93, v157                               // 00000000B310: 0ABB3B5D
	v_mul_f32_e32 v94, v94, v158                               // 00000000B314: 0ABD3D5E
	v_mul_f32_e32 v95, v95, v159                               // 00000000B318: 0ABF3F5F
	v_mul_f32_e64 v4, -v96, s6                                 // 00000000B31C: D1050004 20000D60
	v_mul_f32_e64 v5, -v97, s6                                 // 00000000B324: D1050005 20000D61
	v_mul_f32_e64 v6, -v98, s6                                 // 00000000B32C: D1050006 20000D62
	v_mul_f32_e64 v7, -v99, s6                                 // 00000000B334: D1050007 20000D63
	v_exp_f32_e32 v4, v4                                       // 00000000B33C: 7E084104
	v_exp_f32_e32 v5, v5                                       // 00000000B340: 7E0A4105
	v_exp_f32_e32 v6, v6                                       // 00000000B344: 7E0C4106
	v_exp_f32_e32 v7, v7                                       // 00000000B348: 7E0E4107
	v_add_f32_e64 v4, v4, 1.0                                  // 00000000B34C: D1010004 0001E504
	v_add_f32_e64 v5, v5, 1.0                                  // 00000000B354: D1010005 0001E505
	v_add_f32_e64 v6, v6, 1.0                                  // 00000000B35C: D1010006 0001E506
	v_add_f32_e64 v7, v7, 1.0                                  // 00000000B364: D1010007 0001E507
	v_rcp_f32_e32 v4, v4                                       // 00000000B36C: 7E084504
	v_rcp_f32_e32 v5, v5                                       // 00000000B370: 7E0A4505
	v_rcp_f32_e32 v6, v6                                       // 00000000B374: 7E0C4506
	v_rcp_f32_e32 v7, v7                                       // 00000000B378: 7E0E4507
	v_mul_f32_e32 v96, v96, v4                                 // 00000000B37C: 0AC00960
	v_mul_f32_e32 v97, v97, v5                                 // 00000000B380: 0AC20B61
	v_mul_f32_e32 v98, v98, v6                                 // 00000000B384: 0AC40D62
	v_mul_f32_e32 v99, v99, v7                                 // 00000000B388: 0AC60F63
	v_mul_f32_e32 v96, v96, v160                               // 00000000B38C: 0AC14160
	v_mul_f32_e32 v97, v97, v161                               // 00000000B390: 0AC34361
	v_mul_f32_e32 v98, v98, v162                               // 00000000B394: 0AC54562
	v_mul_f32_e32 v99, v99, v163                               // 00000000B398: 0AC74763
	v_mul_f32_e64 v4, -v100, s6                                // 00000000B39C: D1050004 20000D64
	v_mul_f32_e64 v5, -v101, s6                                // 00000000B3A4: D1050005 20000D65
	v_mul_f32_e64 v6, -v102, s6                                // 00000000B3AC: D1050006 20000D66
	v_mul_f32_e64 v7, -v103, s6                                // 00000000B3B4: D1050007 20000D67
	v_exp_f32_e32 v4, v4                                       // 00000000B3BC: 7E084104
	v_exp_f32_e32 v5, v5                                       // 00000000B3C0: 7E0A4105
	v_exp_f32_e32 v6, v6                                       // 00000000B3C4: 7E0C4106
	v_exp_f32_e32 v7, v7                                       // 00000000B3C8: 7E0E4107
	v_add_f32_e64 v4, v4, 1.0                                  // 00000000B3CC: D1010004 0001E504
	v_add_f32_e64 v5, v5, 1.0                                  // 00000000B3D4: D1010005 0001E505
	v_add_f32_e64 v6, v6, 1.0                                  // 00000000B3DC: D1010006 0001E506
	v_add_f32_e64 v7, v7, 1.0                                  // 00000000B3E4: D1010007 0001E507
	v_rcp_f32_e32 v4, v4                                       // 00000000B3EC: 7E084504
	v_rcp_f32_e32 v5, v5                                       // 00000000B3F0: 7E0A4505
	v_rcp_f32_e32 v6, v6                                       // 00000000B3F4: 7E0C4506
	v_rcp_f32_e32 v7, v7                                       // 00000000B3F8: 7E0E4507
	v_mul_f32_e32 v100, v100, v4                               // 00000000B3FC: 0AC80964
	v_mul_f32_e32 v101, v101, v5                               // 00000000B400: 0ACA0B65
	v_mul_f32_e32 v102, v102, v6                               // 00000000B404: 0ACC0D66
	v_mul_f32_e32 v103, v103, v7                               // 00000000B408: 0ACE0F67
	v_mul_f32_e32 v100, v100, v164                             // 00000000B40C: 0AC94964
	v_mul_f32_e32 v101, v101, v165                             // 00000000B410: 0ACB4B65
	v_mul_f32_e32 v102, v102, v166                             // 00000000B414: 0ACD4D66
	v_mul_f32_e32 v103, v103, v167                             // 00000000B418: 0ACF4F67
	v_mul_f32_e64 v4, -v104, s6                                // 00000000B41C: D1050004 20000D68
	v_mul_f32_e64 v5, -v105, s6                                // 00000000B424: D1050005 20000D69
	v_mul_f32_e64 v6, -v106, s6                                // 00000000B42C: D1050006 20000D6A
	v_mul_f32_e64 v7, -v107, s6                                // 00000000B434: D1050007 20000D6B
	v_exp_f32_e32 v4, v4                                       // 00000000B43C: 7E084104
	v_exp_f32_e32 v5, v5                                       // 00000000B440: 7E0A4105
	v_exp_f32_e32 v6, v6                                       // 00000000B444: 7E0C4106
	v_exp_f32_e32 v7, v7                                       // 00000000B448: 7E0E4107
	v_add_f32_e64 v4, v4, 1.0                                  // 00000000B44C: D1010004 0001E504
	v_add_f32_e64 v5, v5, 1.0                                  // 00000000B454: D1010005 0001E505
	v_add_f32_e64 v6, v6, 1.0                                  // 00000000B45C: D1010006 0001E506
	v_add_f32_e64 v7, v7, 1.0                                  // 00000000B464: D1010007 0001E507
	v_rcp_f32_e32 v4, v4                                       // 00000000B46C: 7E084504
	v_rcp_f32_e32 v5, v5                                       // 00000000B470: 7E0A4505
	v_rcp_f32_e32 v6, v6                                       // 00000000B474: 7E0C4506
	v_rcp_f32_e32 v7, v7                                       // 00000000B478: 7E0E4507
	v_mul_f32_e32 v104, v104, v4                               // 00000000B47C: 0AD00968
	v_mul_f32_e32 v105, v105, v5                               // 00000000B480: 0AD20B69
	v_mul_f32_e32 v106, v106, v6                               // 00000000B484: 0AD40D6A
	v_mul_f32_e32 v107, v107, v7                               // 00000000B488: 0AD60F6B
	v_mul_f32_e32 v104, v104, v168                             // 00000000B48C: 0AD15168
	v_mul_f32_e32 v105, v105, v169                             // 00000000B490: 0AD35369
	v_mul_f32_e32 v106, v106, v170                             // 00000000B494: 0AD5556A
	v_mul_f32_e32 v107, v107, v171                             // 00000000B498: 0AD7576B
	v_mul_f32_e64 v4, -v108, s6                                // 00000000B49C: D1050004 20000D6C
	v_mul_f32_e64 v5, -v109, s6                                // 00000000B4A4: D1050005 20000D6D
	v_mul_f32_e64 v6, -v110, s6                                // 00000000B4AC: D1050006 20000D6E
	v_mul_f32_e64 v7, -v111, s6                                // 00000000B4B4: D1050007 20000D6F
	v_exp_f32_e32 v4, v4                                       // 00000000B4BC: 7E084104
	v_exp_f32_e32 v5, v5                                       // 00000000B4C0: 7E0A4105
	v_exp_f32_e32 v6, v6                                       // 00000000B4C4: 7E0C4106
	v_exp_f32_e32 v7, v7                                       // 00000000B4C8: 7E0E4107
	v_add_f32_e64 v4, v4, 1.0                                  // 00000000B4CC: D1010004 0001E504
	v_add_f32_e64 v5, v5, 1.0                                  // 00000000B4D4: D1010005 0001E505
	v_add_f32_e64 v6, v6, 1.0                                  // 00000000B4DC: D1010006 0001E506
	v_add_f32_e64 v7, v7, 1.0                                  // 00000000B4E4: D1010007 0001E507
	v_rcp_f32_e32 v4, v4                                       // 00000000B4EC: 7E084504
	v_rcp_f32_e32 v5, v5                                       // 00000000B4F0: 7E0A4505
	v_rcp_f32_e32 v6, v6                                       // 00000000B4F4: 7E0C4506
	v_rcp_f32_e32 v7, v7                                       // 00000000B4F8: 7E0E4507
	v_mul_f32_e32 v108, v108, v4                               // 00000000B4FC: 0AD8096C
	v_mul_f32_e32 v109, v109, v5                               // 00000000B500: 0ADA0B6D
	v_mul_f32_e32 v110, v110, v6                               // 00000000B504: 0ADC0D6E
	v_mul_f32_e32 v111, v111, v7                               // 00000000B508: 0ADE0F6F
	v_mul_f32_e32 v108, v108, v172                             // 00000000B50C: 0AD9596C
	v_mul_f32_e32 v109, v109, v173                             // 00000000B510: 0ADB5B6D
	v_mul_f32_e32 v110, v110, v174                             // 00000000B514: 0ADD5D6E
	v_mul_f32_e32 v111, v111, v175                             // 00000000B518: 0ADF5F6F
	v_mul_f32_e64 v4, -v112, s6                                // 00000000B51C: D1050004 20000D70
	v_mul_f32_e64 v5, -v113, s6                                // 00000000B524: D1050005 20000D71
	v_mul_f32_e64 v6, -v114, s6                                // 00000000B52C: D1050006 20000D72
	v_mul_f32_e64 v7, -v115, s6                                // 00000000B534: D1050007 20000D73
	v_exp_f32_e32 v4, v4                                       // 00000000B53C: 7E084104
	v_exp_f32_e32 v5, v5                                       // 00000000B540: 7E0A4105
	v_exp_f32_e32 v6, v6                                       // 00000000B544: 7E0C4106
	v_exp_f32_e32 v7, v7                                       // 00000000B548: 7E0E4107
	v_add_f32_e64 v4, v4, 1.0                                  // 00000000B54C: D1010004 0001E504
	v_add_f32_e64 v5, v5, 1.0                                  // 00000000B554: D1010005 0001E505
	v_add_f32_e64 v6, v6, 1.0                                  // 00000000B55C: D1010006 0001E506
	v_add_f32_e64 v7, v7, 1.0                                  // 00000000B564: D1010007 0001E507
	v_rcp_f32_e32 v4, v4                                       // 00000000B56C: 7E084504
	v_rcp_f32_e32 v5, v5                                       // 00000000B570: 7E0A4505
	v_rcp_f32_e32 v6, v6                                       // 00000000B574: 7E0C4506
	v_rcp_f32_e32 v7, v7                                       // 00000000B578: 7E0E4507
	v_mul_f32_e32 v112, v112, v4                               // 00000000B57C: 0AE00970
	v_mul_f32_e32 v113, v113, v5                               // 00000000B580: 0AE20B71
	v_mul_f32_e32 v114, v114, v6                               // 00000000B584: 0AE40D72
	v_mul_f32_e32 v115, v115, v7                               // 00000000B588: 0AE60F73
	v_mul_f32_e32 v112, v112, v176                             // 00000000B58C: 0AE16170
	v_mul_f32_e32 v113, v113, v177                             // 00000000B590: 0AE36371
	v_mul_f32_e32 v114, v114, v178                             // 00000000B594: 0AE56572
	v_mul_f32_e32 v115, v115, v179                             // 00000000B598: 0AE76773
	v_mul_f32_e64 v4, -v116, s6                                // 00000000B59C: D1050004 20000D74
	v_mul_f32_e64 v5, -v117, s6                                // 00000000B5A4: D1050005 20000D75
	v_mul_f32_e64 v6, -v118, s6                                // 00000000B5AC: D1050006 20000D76
	v_mul_f32_e64 v7, -v119, s6                                // 00000000B5B4: D1050007 20000D77
	v_exp_f32_e32 v4, v4                                       // 00000000B5BC: 7E084104
	v_exp_f32_e32 v5, v5                                       // 00000000B5C0: 7E0A4105
	v_exp_f32_e32 v6, v6                                       // 00000000B5C4: 7E0C4106
	v_exp_f32_e32 v7, v7                                       // 00000000B5C8: 7E0E4107
	v_add_f32_e64 v4, v4, 1.0                                  // 00000000B5CC: D1010004 0001E504
	v_add_f32_e64 v5, v5, 1.0                                  // 00000000B5D4: D1010005 0001E505
	v_add_f32_e64 v6, v6, 1.0                                  // 00000000B5DC: D1010006 0001E506
	v_add_f32_e64 v7, v7, 1.0                                  // 00000000B5E4: D1010007 0001E507
	v_rcp_f32_e32 v4, v4                                       // 00000000B5EC: 7E084504
	v_rcp_f32_e32 v5, v5                                       // 00000000B5F0: 7E0A4505
	v_rcp_f32_e32 v6, v6                                       // 00000000B5F4: 7E0C4506
	v_rcp_f32_e32 v7, v7                                       // 00000000B5F8: 7E0E4507
	v_mul_f32_e32 v116, v116, v4                               // 00000000B5FC: 0AE80974
	v_mul_f32_e32 v117, v117, v5                               // 00000000B600: 0AEA0B75
	v_mul_f32_e32 v118, v118, v6                               // 00000000B604: 0AEC0D76
	v_mul_f32_e32 v119, v119, v7                               // 00000000B608: 0AEE0F77
	v_mul_f32_e32 v116, v116, v180                             // 00000000B60C: 0AE96974
	v_mul_f32_e32 v117, v117, v181                             // 00000000B610: 0AEB6B75
	v_mul_f32_e32 v118, v118, v182                             // 00000000B614: 0AED6D76
	v_mul_f32_e32 v119, v119, v183                             // 00000000B618: 0AEF6F77
	v_mul_f32_e64 v4, -v120, s6                                // 00000000B61C: D1050004 20000D78
	v_mul_f32_e64 v5, -v121, s6                                // 00000000B624: D1050005 20000D79
	v_mul_f32_e64 v6, -v122, s6                                // 00000000B62C: D1050006 20000D7A
	v_mul_f32_e64 v7, -v123, s6                                // 00000000B634: D1050007 20000D7B
	v_exp_f32_e32 v4, v4                                       // 00000000B63C: 7E084104
	v_exp_f32_e32 v5, v5                                       // 00000000B640: 7E0A4105
	v_exp_f32_e32 v6, v6                                       // 00000000B644: 7E0C4106
	v_exp_f32_e32 v7, v7                                       // 00000000B648: 7E0E4107
	v_add_f32_e64 v4, v4, 1.0                                  // 00000000B64C: D1010004 0001E504
	v_add_f32_e64 v5, v5, 1.0                                  // 00000000B654: D1010005 0001E505
	v_add_f32_e64 v6, v6, 1.0                                  // 00000000B65C: D1010006 0001E506
	v_add_f32_e64 v7, v7, 1.0                                  // 00000000B664: D1010007 0001E507
	v_rcp_f32_e32 v4, v4                                       // 00000000B66C: 7E084504
	v_rcp_f32_e32 v5, v5                                       // 00000000B670: 7E0A4505
	v_rcp_f32_e32 v6, v6                                       // 00000000B674: 7E0C4506
	v_rcp_f32_e32 v7, v7                                       // 00000000B678: 7E0E4507
	v_mul_f32_e32 v120, v120, v4                               // 00000000B67C: 0AF00978
	v_mul_f32_e32 v121, v121, v5                               // 00000000B680: 0AF20B79
	v_mul_f32_e32 v122, v122, v6                               // 00000000B684: 0AF40D7A
	v_mul_f32_e32 v123, v123, v7                               // 00000000B688: 0AF60F7B
	v_mul_f32_e32 v120, v120, v184                             // 00000000B68C: 0AF17178
	v_mul_f32_e32 v121, v121, v185                             // 00000000B690: 0AF37379
	v_mul_f32_e32 v122, v122, v186                             // 00000000B694: 0AF5757A
	v_mul_f32_e32 v123, v123, v187                             // 00000000B698: 0AF7777B
	v_mul_f32_e64 v4, -v124, s6                                // 00000000B69C: D1050004 20000D7C
	v_mul_f32_e64 v5, -v125, s6                                // 00000000B6A4: D1050005 20000D7D
	v_mul_f32_e64 v6, -v126, s6                                // 00000000B6AC: D1050006 20000D7E
	v_mul_f32_e64 v7, -v127, s6                                // 00000000B6B4: D1050007 20000D7F
	v_exp_f32_e32 v4, v4                                       // 00000000B6BC: 7E084104
	v_exp_f32_e32 v5, v5                                       // 00000000B6C0: 7E0A4105
	v_exp_f32_e32 v6, v6                                       // 00000000B6C4: 7E0C4106
	v_exp_f32_e32 v7, v7                                       // 00000000B6C8: 7E0E4107
	v_add_f32_e64 v4, v4, 1.0                                  // 00000000B6CC: D1010004 0001E504
	v_add_f32_e64 v5, v5, 1.0                                  // 00000000B6D4: D1010005 0001E505
	v_add_f32_e64 v6, v6, 1.0                                  // 00000000B6DC: D1010006 0001E506
	v_add_f32_e64 v7, v7, 1.0                                  // 00000000B6E4: D1010007 0001E507
	v_rcp_f32_e32 v4, v4                                       // 00000000B6EC: 7E084504
	v_rcp_f32_e32 v5, v5                                       // 00000000B6F0: 7E0A4505
	v_rcp_f32_e32 v6, v6                                       // 00000000B6F4: 7E0C4506
	v_rcp_f32_e32 v7, v7                                       // 00000000B6F8: 7E0E4507
	v_mul_f32_e32 v124, v124, v4                               // 00000000B6FC: 0AF8097C
	v_mul_f32_e32 v125, v125, v5                               // 00000000B700: 0AFA0B7D
	v_mul_f32_e32 v126, v126, v6                               // 00000000B704: 0AFC0D7E
	v_mul_f32_e32 v127, v127, v7                               // 00000000B708: 0AFE0F7F
	v_mul_f32_e32 v124, v124, v188                             // 00000000B70C: 0AF9797C
	v_mul_f32_e32 v125, v125, v189                             // 00000000B710: 0AFB7B7D
	v_mul_f32_e32 v126, v126, v190                             // 00000000B714: 0AFD7D7E
	v_mul_f32_e32 v127, v127, v191                             // 00000000B718: 0AFF7F7F
	v_mul_f32_e64 v4, -v128, s6                                // 00000000B71C: D1050004 20000D80
	v_mul_f32_e64 v5, -v129, s6                                // 00000000B724: D1050005 20000D81
	v_mul_f32_e64 v6, -v130, s6                                // 00000000B72C: D1050006 20000D82
	v_mul_f32_e64 v7, -v131, s6                                // 00000000B734: D1050007 20000D83
	v_exp_f32_e32 v4, v4                                       // 00000000B73C: 7E084104
	v_exp_f32_e32 v5, v5                                       // 00000000B740: 7E0A4105
	v_exp_f32_e32 v6, v6                                       // 00000000B744: 7E0C4106
	v_exp_f32_e32 v7, v7                                       // 00000000B748: 7E0E4107
	v_add_f32_e64 v4, v4, 1.0                                  // 00000000B74C: D1010004 0001E504
	v_add_f32_e64 v5, v5, 1.0                                  // 00000000B754: D1010005 0001E505
	v_add_f32_e64 v6, v6, 1.0                                  // 00000000B75C: D1010006 0001E506
	v_add_f32_e64 v7, v7, 1.0                                  // 00000000B764: D1010007 0001E507
	v_rcp_f32_e32 v4, v4                                       // 00000000B76C: 7E084504
	v_rcp_f32_e32 v5, v5                                       // 00000000B770: 7E0A4505
	v_rcp_f32_e32 v6, v6                                       // 00000000B774: 7E0C4506
	v_rcp_f32_e32 v7, v7                                       // 00000000B778: 7E0E4507
	v_mul_f32_e32 v128, v128, v4                               // 00000000B77C: 0B000980
	v_mul_f32_e32 v129, v129, v5                               // 00000000B780: 0B020B81
	v_mul_f32_e32 v130, v130, v6                               // 00000000B784: 0B040D82
	v_mul_f32_e32 v131, v131, v7                               // 00000000B788: 0B060F83
	v_mul_f32_e32 v128, v128, v192                             // 00000000B78C: 0B018180
	v_mul_f32_e32 v129, v129, v193                             // 00000000B790: 0B038381
	v_mul_f32_e32 v130, v130, v194                             // 00000000B794: 0B058582
	v_mul_f32_e32 v131, v131, v195                             // 00000000B798: 0B078783
	v_mul_f32_e64 v4, -v132, s6                                // 00000000B79C: D1050004 20000D84
	v_mul_f32_e64 v5, -v133, s6                                // 00000000B7A4: D1050005 20000D85
	v_mul_f32_e64 v6, -v134, s6                                // 00000000B7AC: D1050006 20000D86
	v_mul_f32_e64 v7, -v135, s6                                // 00000000B7B4: D1050007 20000D87
	v_exp_f32_e32 v4, v4                                       // 00000000B7BC: 7E084104
	v_exp_f32_e32 v5, v5                                       // 00000000B7C0: 7E0A4105
	v_exp_f32_e32 v6, v6                                       // 00000000B7C4: 7E0C4106
	v_exp_f32_e32 v7, v7                                       // 00000000B7C8: 7E0E4107
	v_add_f32_e64 v4, v4, 1.0                                  // 00000000B7CC: D1010004 0001E504
	v_add_f32_e64 v5, v5, 1.0                                  // 00000000B7D4: D1010005 0001E505
	v_add_f32_e64 v6, v6, 1.0                                  // 00000000B7DC: D1010006 0001E506
	v_add_f32_e64 v7, v7, 1.0                                  // 00000000B7E4: D1010007 0001E507
	v_rcp_f32_e32 v4, v4                                       // 00000000B7EC: 7E084504
	v_rcp_f32_e32 v5, v5                                       // 00000000B7F0: 7E0A4505
	v_rcp_f32_e32 v6, v6                                       // 00000000B7F4: 7E0C4506
	v_rcp_f32_e32 v7, v7                                       // 00000000B7F8: 7E0E4507
	v_mul_f32_e32 v132, v132, v4                               // 00000000B7FC: 0B080984
	v_mul_f32_e32 v133, v133, v5                               // 00000000B800: 0B0A0B85
	v_mul_f32_e32 v134, v134, v6                               // 00000000B804: 0B0C0D86
	v_mul_f32_e32 v135, v135, v7                               // 00000000B808: 0B0E0F87
	v_mul_f32_e32 v132, v132, v196                             // 00000000B80C: 0B098984
	v_mul_f32_e32 v133, v133, v197                             // 00000000B810: 0B0B8B85
	v_mul_f32_e32 v134, v134, v198                             // 00000000B814: 0B0D8D86
	v_mul_f32_e32 v135, v135, v199                             // 00000000B818: 0B0F8F87
	v_mul_f32_e64 v4, -v136, s6                                // 00000000B81C: D1050004 20000D88
	v_mul_f32_e64 v5, -v137, s6                                // 00000000B824: D1050005 20000D89
	v_mul_f32_e64 v6, -v138, s6                                // 00000000B82C: D1050006 20000D8A
	v_mul_f32_e64 v7, -v139, s6                                // 00000000B834: D1050007 20000D8B
	v_exp_f32_e32 v4, v4                                       // 00000000B83C: 7E084104
	v_exp_f32_e32 v5, v5                                       // 00000000B840: 7E0A4105
	v_exp_f32_e32 v6, v6                                       // 00000000B844: 7E0C4106
	v_exp_f32_e32 v7, v7                                       // 00000000B848: 7E0E4107
	v_add_f32_e64 v4, v4, 1.0                                  // 00000000B84C: D1010004 0001E504
	v_add_f32_e64 v5, v5, 1.0                                  // 00000000B854: D1010005 0001E505
	v_add_f32_e64 v6, v6, 1.0                                  // 00000000B85C: D1010006 0001E506
	v_add_f32_e64 v7, v7, 1.0                                  // 00000000B864: D1010007 0001E507
	v_rcp_f32_e32 v4, v4                                       // 00000000B86C: 7E084504
	v_rcp_f32_e32 v5, v5                                       // 00000000B870: 7E0A4505
	v_rcp_f32_e32 v6, v6                                       // 00000000B874: 7E0C4506
	v_rcp_f32_e32 v7, v7                                       // 00000000B878: 7E0E4507
	v_mul_f32_e32 v136, v136, v4                               // 00000000B87C: 0B100988
	v_mul_f32_e32 v137, v137, v5                               // 00000000B880: 0B120B89
	v_mul_f32_e32 v138, v138, v6                               // 00000000B884: 0B140D8A
	v_mul_f32_e32 v139, v139, v7                               // 00000000B888: 0B160F8B
	v_mul_f32_e32 v136, v136, v200                             // 00000000B88C: 0B119188
	v_mul_f32_e32 v137, v137, v201                             // 00000000B890: 0B139389
	v_mul_f32_e32 v138, v138, v202                             // 00000000B894: 0B15958A
	v_mul_f32_e32 v139, v139, v203                             // 00000000B898: 0B17978B
	v_mul_f32_e64 v4, -v140, s6                                // 00000000B89C: D1050004 20000D8C
	v_mul_f32_e64 v5, -v141, s6                                // 00000000B8A4: D1050005 20000D8D
	v_mul_f32_e64 v6, -v142, s6                                // 00000000B8AC: D1050006 20000D8E
	v_mul_f32_e64 v7, -v143, s6                                // 00000000B8B4: D1050007 20000D8F
	v_exp_f32_e32 v4, v4                                       // 00000000B8BC: 7E084104
	v_exp_f32_e32 v5, v5                                       // 00000000B8C0: 7E0A4105
	v_exp_f32_e32 v6, v6                                       // 00000000B8C4: 7E0C4106
	v_exp_f32_e32 v7, v7                                       // 00000000B8C8: 7E0E4107
	v_add_f32_e64 v4, v4, 1.0                                  // 00000000B8CC: D1010004 0001E504
	v_add_f32_e64 v5, v5, 1.0                                  // 00000000B8D4: D1010005 0001E505
	v_add_f32_e64 v6, v6, 1.0                                  // 00000000B8DC: D1010006 0001E506
	v_add_f32_e64 v7, v7, 1.0                                  // 00000000B8E4: D1010007 0001E507
	v_rcp_f32_e32 v4, v4                                       // 00000000B8EC: 7E084504
	v_rcp_f32_e32 v5, v5                                       // 00000000B8F0: 7E0A4505
	v_rcp_f32_e32 v6, v6                                       // 00000000B8F4: 7E0C4506
	v_rcp_f32_e32 v7, v7                                       // 00000000B8F8: 7E0E4507
	v_mul_f32_e32 v140, v140, v4                               // 00000000B8FC: 0B18098C
	v_mul_f32_e32 v141, v141, v5                               // 00000000B900: 0B1A0B8D
	v_mul_f32_e32 v142, v142, v6                               // 00000000B904: 0B1C0D8E
	v_mul_f32_e32 v143, v143, v7                               // 00000000B908: 0B1E0F8F
	v_mul_f32_e32 v140, v140, v204                             // 00000000B90C: 0B19998C
	v_mul_f32_e32 v141, v141, v205                             // 00000000B910: 0B1B9B8D
	v_mul_f32_e32 v142, v142, v206                             // 00000000B914: 0B1D9D8E
	v_mul_f32_e32 v143, v143, v207                             // 00000000B918: 0B1F9F8F

000000000000b91c <label_23CA>:
	v_cmp_u_f32_e64 s[46:47], v80, v80                         // 00000000B91C: D048002E 0002A150
	v_add3_u32 v16, v80, v19, 1                                // 00000000B924: D1FF0010 02062750
	v_cndmask_b32_e64 v4, v16, v18, s[46:47]                   // 00000000B92C: D1000004 00BA2510
	v_cmp_u_f32_e64 s[46:47], v81, v81                         // 00000000B934: D048002E 0002A351
	v_add3_u32 v16, v81, v19, 1                                // 00000000B93C: D1FF0010 02062751
	v_cndmask_b32_e64 v5, v16, v18, s[46:47]                   // 00000000B944: D1000005 00BA2510
	v_perm_b32 v80, v5, v4, s52                                // 00000000B94C: D1ED0050 00D20905
	v_cmp_u_f32_e64 s[46:47], v82, v82                         // 00000000B954: D048002E 0002A552
	v_add3_u32 v16, v82, v19, 1                                // 00000000B95C: D1FF0010 02062752
	v_cndmask_b32_e64 v4, v16, v18, s[46:47]                   // 00000000B964: D1000004 00BA2510
	v_cmp_u_f32_e64 s[46:47], v83, v83                         // 00000000B96C: D048002E 0002A753
	v_add3_u32 v16, v83, v19, 1                                // 00000000B974: D1FF0010 02062753
	v_cndmask_b32_e64 v5, v16, v18, s[46:47]                   // 00000000B97C: D1000005 00BA2510
	v_perm_b32 v81, v5, v4, s52                                // 00000000B984: D1ED0051 00D20905
	v_cmp_u_f32_e64 s[46:47], v84, v84                         // 00000000B98C: D048002E 0002A954
	v_add3_u32 v16, v84, v19, 1                                // 00000000B994: D1FF0010 02062754
	v_cndmask_b32_e64 v4, v16, v18, s[46:47]                   // 00000000B99C: D1000004 00BA2510
	v_cmp_u_f32_e64 s[46:47], v85, v85                         // 00000000B9A4: D048002E 0002AB55
	v_add3_u32 v16, v85, v19, 1                                // 00000000B9AC: D1FF0010 02062755
	v_cndmask_b32_e64 v5, v16, v18, s[46:47]                   // 00000000B9B4: D1000005 00BA2510
	v_perm_b32 v82, v5, v4, s52                                // 00000000B9BC: D1ED0052 00D20905
	v_cmp_u_f32_e64 s[46:47], v86, v86                         // 00000000B9C4: D048002E 0002AD56
	v_add3_u32 v16, v86, v19, 1                                // 00000000B9CC: D1FF0010 02062756
	v_cndmask_b32_e64 v4, v16, v18, s[46:47]                   // 00000000B9D4: D1000004 00BA2510
	v_cmp_u_f32_e64 s[46:47], v87, v87                         // 00000000B9DC: D048002E 0002AF57
	v_add3_u32 v16, v87, v19, 1                                // 00000000B9E4: D1FF0010 02062757
	v_cndmask_b32_e64 v5, v16, v18, s[46:47]                   // 00000000B9EC: D1000005 00BA2510
	v_perm_b32 v83, v5, v4, s52                                // 00000000B9F4: D1ED0053 00D20905
	v_cmp_u_f32_e64 s[46:47], v88, v88                         // 00000000B9FC: D048002E 0002B158
	v_add3_u32 v16, v88, v19, 1                                // 00000000BA04: D1FF0010 02062758
	v_cndmask_b32_e64 v4, v16, v18, s[46:47]                   // 00000000BA0C: D1000004 00BA2510
	v_cmp_u_f32_e64 s[46:47], v89, v89                         // 00000000BA14: D048002E 0002B359
	v_add3_u32 v16, v89, v19, 1                                // 00000000BA1C: D1FF0010 02062759
	v_cndmask_b32_e64 v5, v16, v18, s[46:47]                   // 00000000BA24: D1000005 00BA2510
	v_perm_b32 v84, v5, v4, s52                                // 00000000BA2C: D1ED0054 00D20905
	v_cmp_u_f32_e64 s[46:47], v90, v90                         // 00000000BA34: D048002E 0002B55A
	v_add3_u32 v16, v90, v19, 1                                // 00000000BA3C: D1FF0010 0206275A
	v_cndmask_b32_e64 v4, v16, v18, s[46:47]                   // 00000000BA44: D1000004 00BA2510
	v_cmp_u_f32_e64 s[46:47], v91, v91                         // 00000000BA4C: D048002E 0002B75B
	v_add3_u32 v16, v91, v19, 1                                // 00000000BA54: D1FF0010 0206275B
	v_cndmask_b32_e64 v5, v16, v18, s[46:47]                   // 00000000BA5C: D1000005 00BA2510
	v_perm_b32 v85, v5, v4, s52                                // 00000000BA64: D1ED0055 00D20905
	v_cmp_u_f32_e64 s[46:47], v92, v92                         // 00000000BA6C: D048002E 0002B95C
	v_add3_u32 v16, v92, v19, 1                                // 00000000BA74: D1FF0010 0206275C
	v_cndmask_b32_e64 v4, v16, v18, s[46:47]                   // 00000000BA7C: D1000004 00BA2510
	v_cmp_u_f32_e64 s[46:47], v93, v93                         // 00000000BA84: D048002E 0002BB5D
	v_add3_u32 v16, v93, v19, 1                                // 00000000BA8C: D1FF0010 0206275D
	v_cndmask_b32_e64 v5, v16, v18, s[46:47]                   // 00000000BA94: D1000005 00BA2510
	v_perm_b32 v86, v5, v4, s52                                // 00000000BA9C: D1ED0056 00D20905
	v_cmp_u_f32_e64 s[46:47], v94, v94                         // 00000000BAA4: D048002E 0002BD5E
	v_add3_u32 v16, v94, v19, 1                                // 00000000BAAC: D1FF0010 0206275E
	v_cndmask_b32_e64 v4, v16, v18, s[46:47]                   // 00000000BAB4: D1000004 00BA2510
	v_cmp_u_f32_e64 s[46:47], v95, v95                         // 00000000BABC: D048002E 0002BF5F
	v_add3_u32 v16, v95, v19, 1                                // 00000000BAC4: D1FF0010 0206275F
	v_cndmask_b32_e64 v5, v16, v18, s[46:47]                   // 00000000BACC: D1000005 00BA2510
	v_perm_b32 v87, v5, v4, s52                                // 00000000BAD4: D1ED0057 00D20905
	v_cmp_u_f32_e64 s[46:47], v96, v96                         // 00000000BADC: D048002E 0002C160
	v_add3_u32 v16, v96, v19, 1                                // 00000000BAE4: D1FF0010 02062760
	v_cndmask_b32_e64 v4, v16, v18, s[46:47]                   // 00000000BAEC: D1000004 00BA2510
	v_cmp_u_f32_e64 s[46:47], v97, v97                         // 00000000BAF4: D048002E 0002C361
	v_add3_u32 v16, v97, v19, 1                                // 00000000BAFC: D1FF0010 02062761
	v_cndmask_b32_e64 v5, v16, v18, s[46:47]                   // 00000000BB04: D1000005 00BA2510
	v_perm_b32 v88, v5, v4, s52                                // 00000000BB0C: D1ED0058 00D20905
	v_cmp_u_f32_e64 s[46:47], v98, v98                         // 00000000BB14: D048002E 0002C562
	v_add3_u32 v16, v98, v19, 1                                // 00000000BB1C: D1FF0010 02062762
	v_cndmask_b32_e64 v4, v16, v18, s[46:47]                   // 00000000BB24: D1000004 00BA2510
	v_cmp_u_f32_e64 s[46:47], v99, v99                         // 00000000BB2C: D048002E 0002C763
	v_add3_u32 v16, v99, v19, 1                                // 00000000BB34: D1FF0010 02062763
	v_cndmask_b32_e64 v5, v16, v18, s[46:47]                   // 00000000BB3C: D1000005 00BA2510
	v_perm_b32 v89, v5, v4, s52                                // 00000000BB44: D1ED0059 00D20905
	v_cmp_u_f32_e64 s[46:47], v100, v100                       // 00000000BB4C: D048002E 0002C964
	v_add3_u32 v16, v100, v19, 1                               // 00000000BB54: D1FF0010 02062764
	v_cndmask_b32_e64 v4, v16, v18, s[46:47]                   // 00000000BB5C: D1000004 00BA2510
	v_cmp_u_f32_e64 s[46:47], v101, v101                       // 00000000BB64: D048002E 0002CB65
	v_add3_u32 v16, v101, v19, 1                               // 00000000BB6C: D1FF0010 02062765
	v_cndmask_b32_e64 v5, v16, v18, s[46:47]                   // 00000000BB74: D1000005 00BA2510
	v_perm_b32 v90, v5, v4, s52                                // 00000000BB7C: D1ED005A 00D20905
	v_cmp_u_f32_e64 s[46:47], v102, v102                       // 00000000BB84: D048002E 0002CD66
	v_add3_u32 v16, v102, v19, 1                               // 00000000BB8C: D1FF0010 02062766
	v_cndmask_b32_e64 v4, v16, v18, s[46:47]                   // 00000000BB94: D1000004 00BA2510
	v_cmp_u_f32_e64 s[46:47], v103, v103                       // 00000000BB9C: D048002E 0002CF67
	v_add3_u32 v16, v103, v19, 1                               // 00000000BBA4: D1FF0010 02062767
	v_cndmask_b32_e64 v5, v16, v18, s[46:47]                   // 00000000BBAC: D1000005 00BA2510
	v_perm_b32 v91, v5, v4, s52                                // 00000000BBB4: D1ED005B 00D20905
	v_cmp_u_f32_e64 s[46:47], v104, v104                       // 00000000BBBC: D048002E 0002D168
	v_add3_u32 v16, v104, v19, 1                               // 00000000BBC4: D1FF0010 02062768
	v_cndmask_b32_e64 v4, v16, v18, s[46:47]                   // 00000000BBCC: D1000004 00BA2510
	v_cmp_u_f32_e64 s[46:47], v105, v105                       // 00000000BBD4: D048002E 0002D369
	v_add3_u32 v16, v105, v19, 1                               // 00000000BBDC: D1FF0010 02062769
	v_cndmask_b32_e64 v5, v16, v18, s[46:47]                   // 00000000BBE4: D1000005 00BA2510
	v_perm_b32 v92, v5, v4, s52                                // 00000000BBEC: D1ED005C 00D20905
	v_cmp_u_f32_e64 s[46:47], v106, v106                       // 00000000BBF4: D048002E 0002D56A
	v_add3_u32 v16, v106, v19, 1                               // 00000000BBFC: D1FF0010 0206276A
	v_cndmask_b32_e64 v4, v16, v18, s[46:47]                   // 00000000BC04: D1000004 00BA2510
	v_cmp_u_f32_e64 s[46:47], v107, v107                       // 00000000BC0C: D048002E 0002D76B
	v_add3_u32 v16, v107, v19, 1                               // 00000000BC14: D1FF0010 0206276B
	v_cndmask_b32_e64 v5, v16, v18, s[46:47]                   // 00000000BC1C: D1000005 00BA2510
	v_perm_b32 v93, v5, v4, s52                                // 00000000BC24: D1ED005D 00D20905
	v_cmp_u_f32_e64 s[46:47], v108, v108                       // 00000000BC2C: D048002E 0002D96C
	v_add3_u32 v16, v108, v19, 1                               // 00000000BC34: D1FF0010 0206276C
	v_cndmask_b32_e64 v4, v16, v18, s[46:47]                   // 00000000BC3C: D1000004 00BA2510
	v_cmp_u_f32_e64 s[46:47], v109, v109                       // 00000000BC44: D048002E 0002DB6D
	v_add3_u32 v16, v109, v19, 1                               // 00000000BC4C: D1FF0010 0206276D
	v_cndmask_b32_e64 v5, v16, v18, s[46:47]                   // 00000000BC54: D1000005 00BA2510
	v_perm_b32 v94, v5, v4, s52                                // 00000000BC5C: D1ED005E 00D20905
	v_cmp_u_f32_e64 s[46:47], v110, v110                       // 00000000BC64: D048002E 0002DD6E
	v_add3_u32 v16, v110, v19, 1                               // 00000000BC6C: D1FF0010 0206276E
	v_cndmask_b32_e64 v4, v16, v18, s[46:47]                   // 00000000BC74: D1000004 00BA2510
	v_cmp_u_f32_e64 s[46:47], v111, v111                       // 00000000BC7C: D048002E 0002DF6F
	v_add3_u32 v16, v111, v19, 1                               // 00000000BC84: D1FF0010 0206276F
	v_cndmask_b32_e64 v5, v16, v18, s[46:47]                   // 00000000BC8C: D1000005 00BA2510
	v_perm_b32 v95, v5, v4, s52                                // 00000000BC94: D1ED005F 00D20905
	v_cmp_u_f32_e64 s[46:47], v112, v112                       // 00000000BC9C: D048002E 0002E170
	v_add3_u32 v16, v112, v19, 1                               // 00000000BCA4: D1FF0010 02062770
	v_cndmask_b32_e64 v4, v16, v18, s[46:47]                   // 00000000BCAC: D1000004 00BA2510
	v_cmp_u_f32_e64 s[46:47], v113, v113                       // 00000000BCB4: D048002E 0002E371
	v_add3_u32 v16, v113, v19, 1                               // 00000000BCBC: D1FF0010 02062771
	v_cndmask_b32_e64 v5, v16, v18, s[46:47]                   // 00000000BCC4: D1000005 00BA2510
	v_perm_b32 v96, v5, v4, s52                                // 00000000BCCC: D1ED0060 00D20905
	v_cmp_u_f32_e64 s[46:47], v114, v114                       // 00000000BCD4: D048002E 0002E572
	v_add3_u32 v16, v114, v19, 1                               // 00000000BCDC: D1FF0010 02062772
	v_cndmask_b32_e64 v4, v16, v18, s[46:47]                   // 00000000BCE4: D1000004 00BA2510
	v_cmp_u_f32_e64 s[46:47], v115, v115                       // 00000000BCEC: D048002E 0002E773
	v_add3_u32 v16, v115, v19, 1                               // 00000000BCF4: D1FF0010 02062773
	v_cndmask_b32_e64 v5, v16, v18, s[46:47]                   // 00000000BCFC: D1000005 00BA2510
	v_perm_b32 v97, v5, v4, s52                                // 00000000BD04: D1ED0061 00D20905
	v_cmp_u_f32_e64 s[46:47], v116, v116                       // 00000000BD0C: D048002E 0002E974
	v_add3_u32 v16, v116, v19, 1                               // 00000000BD14: D1FF0010 02062774
	v_cndmask_b32_e64 v4, v16, v18, s[46:47]                   // 00000000BD1C: D1000004 00BA2510
	v_cmp_u_f32_e64 s[46:47], v117, v117                       // 00000000BD24: D048002E 0002EB75
	v_add3_u32 v16, v117, v19, 1                               // 00000000BD2C: D1FF0010 02062775
	v_cndmask_b32_e64 v5, v16, v18, s[46:47]                   // 00000000BD34: D1000005 00BA2510
	v_perm_b32 v98, v5, v4, s52                                // 00000000BD3C: D1ED0062 00D20905
	v_cmp_u_f32_e64 s[46:47], v118, v118                       // 00000000BD44: D048002E 0002ED76
	v_add3_u32 v16, v118, v19, 1                               // 00000000BD4C: D1FF0010 02062776
	v_cndmask_b32_e64 v4, v16, v18, s[46:47]                   // 00000000BD54: D1000004 00BA2510
	v_cmp_u_f32_e64 s[46:47], v119, v119                       // 00000000BD5C: D048002E 0002EF77
	v_add3_u32 v16, v119, v19, 1                               // 00000000BD64: D1FF0010 02062777
	v_cndmask_b32_e64 v5, v16, v18, s[46:47]                   // 00000000BD6C: D1000005 00BA2510
	v_perm_b32 v99, v5, v4, s52                                // 00000000BD74: D1ED0063 00D20905
	v_cmp_u_f32_e64 s[46:47], v120, v120                       // 00000000BD7C: D048002E 0002F178
	v_add3_u32 v16, v120, v19, 1                               // 00000000BD84: D1FF0010 02062778
	v_cndmask_b32_e64 v4, v16, v18, s[46:47]                   // 00000000BD8C: D1000004 00BA2510
	v_cmp_u_f32_e64 s[46:47], v121, v121                       // 00000000BD94: D048002E 0002F379
	v_add3_u32 v16, v121, v19, 1                               // 00000000BD9C: D1FF0010 02062779
	v_cndmask_b32_e64 v5, v16, v18, s[46:47]                   // 00000000BDA4: D1000005 00BA2510
	v_perm_b32 v100, v5, v4, s52                               // 00000000BDAC: D1ED0064 00D20905
	v_cmp_u_f32_e64 s[46:47], v122, v122                       // 00000000BDB4: D048002E 0002F57A
	v_add3_u32 v16, v122, v19, 1                               // 00000000BDBC: D1FF0010 0206277A
	v_cndmask_b32_e64 v4, v16, v18, s[46:47]                   // 00000000BDC4: D1000004 00BA2510
	v_cmp_u_f32_e64 s[46:47], v123, v123                       // 00000000BDCC: D048002E 0002F77B
	v_add3_u32 v16, v123, v19, 1                               // 00000000BDD4: D1FF0010 0206277B
	v_cndmask_b32_e64 v5, v16, v18, s[46:47]                   // 00000000BDDC: D1000005 00BA2510
	v_perm_b32 v101, v5, v4, s52                               // 00000000BDE4: D1ED0065 00D20905
	v_cmp_u_f32_e64 s[46:47], v124, v124                       // 00000000BDEC: D048002E 0002F97C
	v_add3_u32 v16, v124, v19, 1                               // 00000000BDF4: D1FF0010 0206277C
	v_cndmask_b32_e64 v4, v16, v18, s[46:47]                   // 00000000BDFC: D1000004 00BA2510
	v_cmp_u_f32_e64 s[46:47], v125, v125                       // 00000000BE04: D048002E 0002FB7D
	v_add3_u32 v16, v125, v19, 1                               // 00000000BE0C: D1FF0010 0206277D
	v_cndmask_b32_e64 v5, v16, v18, s[46:47]                   // 00000000BE14: D1000005 00BA2510
	v_perm_b32 v102, v5, v4, s52                               // 00000000BE1C: D1ED0066 00D20905
	v_cmp_u_f32_e64 s[46:47], v126, v126                       // 00000000BE24: D048002E 0002FD7E
	v_add3_u32 v16, v126, v19, 1                               // 00000000BE2C: D1FF0010 0206277E
	v_cndmask_b32_e64 v4, v16, v18, s[46:47]                   // 00000000BE34: D1000004 00BA2510
	v_cmp_u_f32_e64 s[46:47], v127, v127                       // 00000000BE3C: D048002E 0002FF7F
	v_add3_u32 v16, v127, v19, 1                               // 00000000BE44: D1FF0010 0206277F
	v_cndmask_b32_e64 v5, v16, v18, s[46:47]                   // 00000000BE4C: D1000005 00BA2510
	v_perm_b32 v103, v5, v4, s52                               // 00000000BE54: D1ED0067 00D20905
	v_cmp_u_f32_e64 s[46:47], v128, v128                       // 00000000BE5C: D048002E 00030180
	v_add3_u32 v16, v128, v19, 1                               // 00000000BE64: D1FF0010 02062780
	v_cndmask_b32_e64 v4, v16, v18, s[46:47]                   // 00000000BE6C: D1000004 00BA2510
	v_cmp_u_f32_e64 s[46:47], v129, v129                       // 00000000BE74: D048002E 00030381
	v_add3_u32 v16, v129, v19, 1                               // 00000000BE7C: D1FF0010 02062781
	v_cndmask_b32_e64 v5, v16, v18, s[46:47]                   // 00000000BE84: D1000005 00BA2510
	v_perm_b32 v104, v5, v4, s52                               // 00000000BE8C: D1ED0068 00D20905
	v_cmp_u_f32_e64 s[46:47], v130, v130                       // 00000000BE94: D048002E 00030582
	v_add3_u32 v16, v130, v19, 1                               // 00000000BE9C: D1FF0010 02062782
	v_cndmask_b32_e64 v4, v16, v18, s[46:47]                   // 00000000BEA4: D1000004 00BA2510
	v_cmp_u_f32_e64 s[46:47], v131, v131                       // 00000000BEAC: D048002E 00030783
	v_add3_u32 v16, v131, v19, 1                               // 00000000BEB4: D1FF0010 02062783
	v_cndmask_b32_e64 v5, v16, v18, s[46:47]                   // 00000000BEBC: D1000005 00BA2510
	v_perm_b32 v105, v5, v4, s52                               // 00000000BEC4: D1ED0069 00D20905
	v_cmp_u_f32_e64 s[46:47], v132, v132                       // 00000000BECC: D048002E 00030984
	v_add3_u32 v16, v132, v19, 1                               // 00000000BED4: D1FF0010 02062784
	v_cndmask_b32_e64 v4, v16, v18, s[46:47]                   // 00000000BEDC: D1000004 00BA2510
	v_cmp_u_f32_e64 s[46:47], v133, v133                       // 00000000BEE4: D048002E 00030B85
	v_add3_u32 v16, v133, v19, 1                               // 00000000BEEC: D1FF0010 02062785
	v_cndmask_b32_e64 v5, v16, v18, s[46:47]                   // 00000000BEF4: D1000005 00BA2510
	v_perm_b32 v106, v5, v4, s52                               // 00000000BEFC: D1ED006A 00D20905
	v_cmp_u_f32_e64 s[46:47], v134, v134                       // 00000000BF04: D048002E 00030D86
	v_add3_u32 v16, v134, v19, 1                               // 00000000BF0C: D1FF0010 02062786
	v_cndmask_b32_e64 v4, v16, v18, s[46:47]                   // 00000000BF14: D1000004 00BA2510
	v_cmp_u_f32_e64 s[46:47], v135, v135                       // 00000000BF1C: D048002E 00030F87
	v_add3_u32 v16, v135, v19, 1                               // 00000000BF24: D1FF0010 02062787
	v_cndmask_b32_e64 v5, v16, v18, s[46:47]                   // 00000000BF2C: D1000005 00BA2510
	v_perm_b32 v107, v5, v4, s52                               // 00000000BF34: D1ED006B 00D20905
	v_cmp_u_f32_e64 s[46:47], v136, v136                       // 00000000BF3C: D048002E 00031188
	v_add3_u32 v16, v136, v19, 1                               // 00000000BF44: D1FF0010 02062788
	v_cndmask_b32_e64 v4, v16, v18, s[46:47]                   // 00000000BF4C: D1000004 00BA2510
	v_cmp_u_f32_e64 s[46:47], v137, v137                       // 00000000BF54: D048002E 00031389
	v_add3_u32 v16, v137, v19, 1                               // 00000000BF5C: D1FF0010 02062789
	v_cndmask_b32_e64 v5, v16, v18, s[46:47]                   // 00000000BF64: D1000005 00BA2510
	v_perm_b32 v108, v5, v4, s52                               // 00000000BF6C: D1ED006C 00D20905
	v_cmp_u_f32_e64 s[46:47], v138, v138                       // 00000000BF74: D048002E 0003158A
	v_add3_u32 v16, v138, v19, 1                               // 00000000BF7C: D1FF0010 0206278A
	v_cndmask_b32_e64 v4, v16, v18, s[46:47]                   // 00000000BF84: D1000004 00BA2510
	v_cmp_u_f32_e64 s[46:47], v139, v139                       // 00000000BF8C: D048002E 0003178B
	v_add3_u32 v16, v139, v19, 1                               // 00000000BF94: D1FF0010 0206278B
	v_cndmask_b32_e64 v5, v16, v18, s[46:47]                   // 00000000BF9C: D1000005 00BA2510
	v_perm_b32 v109, v5, v4, s52                               // 00000000BFA4: D1ED006D 00D20905
	v_cmp_u_f32_e64 s[46:47], v140, v140                       // 00000000BFAC: D048002E 0003198C
	v_add3_u32 v16, v140, v19, 1                               // 00000000BFB4: D1FF0010 0206278C
	v_cndmask_b32_e64 v4, v16, v18, s[46:47]                   // 00000000BFBC: D1000004 00BA2510
	v_cmp_u_f32_e64 s[46:47], v141, v141                       // 00000000BFC4: D048002E 00031B8D
	v_add3_u32 v16, v141, v19, 1                               // 00000000BFCC: D1FF0010 0206278D
	v_cndmask_b32_e64 v5, v16, v18, s[46:47]                   // 00000000BFD4: D1000005 00BA2510
	v_perm_b32 v110, v5, v4, s52                               // 00000000BFDC: D1ED006E 00D20905
	v_cmp_u_f32_e64 s[46:47], v142, v142                       // 00000000BFE4: D048002E 00031D8E
	v_add3_u32 v16, v142, v19, 1                               // 00000000BFEC: D1FF0010 0206278E
	v_cndmask_b32_e64 v4, v16, v18, s[46:47]                   // 00000000BFF4: D1000004 00BA2510
	v_cmp_u_f32_e64 s[46:47], v143, v143                       // 00000000BFFC: D048002E 00031F8F
	v_add3_u32 v16, v143, v19, 1                               // 00000000C004: D1FF0010 0206278F
	v_cndmask_b32_e64 v5, v16, v18, s[46:47]                   // 00000000C00C: D1000005 00BA2510
	v_perm_b32 v111, v5, v4, s52                               // 00000000C014: D1ED006F 00D20905
	ds_write_b64 v20, v[80:81]                                 // 00000000C01C: D89A0000 00005014
	ds_write_b64 v20, v[82:83] offset:4352                     // 00000000C024: D89A1100 00005214
	ds_write_b64 v20, v[84:85] offset:8704                     // 00000000C02C: D89A2200 00005414
	ds_write_b64 v20, v[86:87] offset:13056                    // 00000000C034: D89A3300 00005614
	ds_write_b64 v20, v[88:89] offset:17408                    // 00000000C03C: D89A4400 00005814
	ds_write_b64 v20, v[90:91] offset:21760                    // 00000000C044: D89A5500 00005A14
	ds_write_b64 v20, v[92:93] offset:26112                    // 00000000C04C: D89A6600 00005C14
	ds_write_b64 v20, v[94:95] offset:30464                    // 00000000C054: D89A7700 00005E14
	ds_write_b64 v20, v[96:97] offset:2176                     // 00000000C05C: D89A0880 00006014
	ds_write_b64 v20, v[98:99] offset:6528                     // 00000000C064: D89A1980 00006214
	ds_write_b64 v20, v[100:101] offset:10880                  // 00000000C06C: D89A2A80 00006414
	ds_write_b64 v20, v[102:103] offset:15232                  // 00000000C074: D89A3B80 00006614
	ds_write_b64 v20, v[104:105] offset:19584                  // 00000000C07C: D89A4C80 00006814
	ds_write_b64 v20, v[106:107] offset:23936                  // 00000000C084: D89A5D80 00006A14
	ds_write_b64 v20, v[108:109] offset:28288                  // 00000000C08C: D89A6E80 00006C14
	ds_write_b64 v20, v[110:111] offset:32640                  // 00000000C094: D89A7F80 00006E14
	v_lshrrev_b32_e32 v4, 5, v0                                // 00000000C09C: 20080085
	v_xor_b32_e32 v5, 1, v4                                    // 00000000C0A0: 2A0A0881
	s_mul_i32 s60, s65, 2                                      // 00000000C0A4: 923C8241
	s_cmp_eq_u32 s88, 0                                        // 00000000C0A8: BF068058
	s_cselect_b32 s61, 1, 4                                    // 00000000C0AC: 853D8481
	s_mul_i32 s60, s61, s60                                    // 00000000C0B0: 923C3C3D
	v_readlane_b32 s82, v3, 0                                  // 00000000C0B4: D2890052 00010103
	s_lshr_b32 s61, s82, 24                                    // 00000000C0BC: 8F3D9852
	s_and_b32 s82, s82, 0xffffff                               // 00000000C0C0: 8652FF52 00FFFFFF
	s_mul_i32 s82, s82, s71                                    // 00000000C0C8: 92524752
	s_mul_i32 s61, s60, s61                                    // 00000000C0CC: 923D3D3C
	s_add_u32 s82, s82, s61                                    // 00000000C0D0: 80523D52
	v_mul_lo_u32 v6, v5, s82                                   // 00000000C0D4: D2850006 0000A505
	v_readlane_b32 s82, v3, 1                                  // 00000000C0DC: D2890052 00010303
	s_lshr_b32 s61, s82, 24                                    // 00000000C0E4: 8F3D9852
	s_and_b32 s82, s82, 0xffffff                               // 00000000C0E8: 8652FF52 00FFFFFF
	s_mul_i32 s82, s82, s71                                    // 00000000C0F0: 92524752
	s_mul_i32 s61, s60, s61                                    // 00000000C0F4: 923D3D3C
	s_add_u32 s82, s82, s61                                    // 00000000C0F8: 80523D52
	v_mul_lo_u32 v7, v4, s82                                   // 00000000C0FC: D2850007 0000A504
	v_add_u32_e32 v60, v6, v7                                  // 00000000C104: 68780F06
	v_readlane_b32 s82, v3, 2                                  // 00000000C108: D2890052 00010503
	s_lshr_b32 s61, s82, 24                                    // 00000000C110: 8F3D9852
	s_and_b32 s82, s82, 0xffffff                               // 00000000C114: 8652FF52 00FFFFFF
	s_mul_i32 s82, s82, s71                                    // 00000000C11C: 92524752
	s_mul_i32 s61, s60, s61                                    // 00000000C120: 923D3D3C
	s_add_u32 s82, s82, s61                                    // 00000000C124: 80523D52
	v_mul_lo_u32 v6, v5, s82                                   // 00000000C128: D2850006 0000A505
	v_readlane_b32 s82, v3, 3                                  // 00000000C130: D2890052 00010703
	s_lshr_b32 s61, s82, 24                                    // 00000000C138: 8F3D9852
	s_and_b32 s82, s82, 0xffffff                               // 00000000C13C: 8652FF52 00FFFFFF
	s_mul_i32 s82, s82, s71                                    // 00000000C144: 92524752
	s_mul_i32 s61, s60, s61                                    // 00000000C148: 923D3D3C
	s_add_u32 s82, s82, s61                                    // 00000000C14C: 80523D52
	v_mul_lo_u32 v7, v4, s82                                   // 00000000C150: D2850007 0000A504
	v_add_u32_e32 v61, v6, v7                                  // 00000000C158: 687A0F06
	v_readlane_b32 s82, v3, 4                                  // 00000000C15C: D2890052 00010903
	s_lshr_b32 s61, s82, 24                                    // 00000000C164: 8F3D9852
	s_and_b32 s82, s82, 0xffffff                               // 00000000C168: 8652FF52 00FFFFFF
	s_mul_i32 s82, s82, s71                                    // 00000000C170: 92524752
	s_mul_i32 s61, s60, s61                                    // 00000000C174: 923D3D3C
	s_add_u32 s82, s82, s61                                    // 00000000C178: 80523D52
	v_mul_lo_u32 v6, v5, s82                                   // 00000000C17C: D2850006 0000A505
	v_readlane_b32 s82, v3, 5                                  // 00000000C184: D2890052 00010B03
	s_lshr_b32 s61, s82, 24                                    // 00000000C18C: 8F3D9852
	s_and_b32 s82, s82, 0xffffff                               // 00000000C190: 8652FF52 00FFFFFF
	s_mul_i32 s82, s82, s71                                    // 00000000C198: 92524752
	s_mul_i32 s61, s60, s61                                    // 00000000C19C: 923D3D3C
	s_add_u32 s82, s82, s61                                    // 00000000C1A0: 80523D52
	v_mul_lo_u32 v7, v4, s82                                   // 00000000C1A4: D2850007 0000A504
	v_add_u32_e32 v62, v6, v7                                  // 00000000C1AC: 687C0F06
	v_readlane_b32 s82, v3, 6                                  // 00000000C1B0: D2890052 00010D03
	s_lshr_b32 s61, s82, 24                                    // 00000000C1B8: 8F3D9852
	s_and_b32 s82, s82, 0xffffff                               // 00000000C1BC: 8652FF52 00FFFFFF
	s_mul_i32 s82, s82, s71                                    // 00000000C1C4: 92524752
	s_mul_i32 s61, s60, s61                                    // 00000000C1C8: 923D3D3C
	s_add_u32 s82, s82, s61                                    // 00000000C1CC: 80523D52
	v_mul_lo_u32 v6, v5, s82                                   // 00000000C1D0: D2850006 0000A505
	v_readlane_b32 s82, v3, 7                                  // 00000000C1D8: D2890052 00010F03
	s_lshr_b32 s61, s82, 24                                    // 00000000C1E0: 8F3D9852
	s_and_b32 s82, s82, 0xffffff                               // 00000000C1E4: 8652FF52 00FFFFFF
	s_mul_i32 s82, s82, s71                                    // 00000000C1EC: 92524752
	s_mul_i32 s61, s60, s61                                    // 00000000C1F0: 923D3D3C
	s_add_u32 s82, s82, s61                                    // 00000000C1F4: 80523D52
	v_mul_lo_u32 v7, v4, s82                                   // 00000000C1F8: D2850007 0000A504
	v_add_u32_e32 v63, v6, v7                                  // 00000000C200: 687E0F06
	v_readlane_b32 s82, v3, 8                                  // 00000000C204: D2890052 00011103
	s_lshr_b32 s61, s82, 24                                    // 00000000C20C: 8F3D9852
	s_and_b32 s82, s82, 0xffffff                               // 00000000C210: 8652FF52 00FFFFFF
	s_mul_i32 s82, s82, s71                                    // 00000000C218: 92524752
	s_mul_i32 s61, s60, s61                                    // 00000000C21C: 923D3D3C
	s_add_u32 s82, s82, s61                                    // 00000000C220: 80523D52
	v_mul_lo_u32 v6, v5, s82                                   // 00000000C224: D2850006 0000A505
	v_readlane_b32 s82, v3, 9                                  // 00000000C22C: D2890052 00011303
	s_lshr_b32 s61, s82, 24                                    // 00000000C234: 8F3D9852
	s_and_b32 s82, s82, 0xffffff                               // 00000000C238: 8652FF52 00FFFFFF
	s_mul_i32 s82, s82, s71                                    // 00000000C240: 92524752
	s_mul_i32 s61, s60, s61                                    // 00000000C244: 923D3D3C
	s_add_u32 s82, s82, s61                                    // 00000000C248: 80523D52
	v_mul_lo_u32 v7, v4, s82                                   // 00000000C24C: D2850007 0000A504
	v_add_u32_e32 v64, v6, v7                                  // 00000000C254: 68800F06
	v_readlane_b32 s82, v3, 10                                 // 00000000C258: D2890052 00011503
	s_lshr_b32 s61, s82, 24                                    // 00000000C260: 8F3D9852
	s_and_b32 s82, s82, 0xffffff                               // 00000000C264: 8652FF52 00FFFFFF
	s_mul_i32 s82, s82, s71                                    // 00000000C26C: 92524752
	s_mul_i32 s61, s60, s61                                    // 00000000C270: 923D3D3C
	s_add_u32 s82, s82, s61                                    // 00000000C274: 80523D52
	v_mul_lo_u32 v6, v5, s82                                   // 00000000C278: D2850006 0000A505
	v_readlane_b32 s82, v3, 11                                 // 00000000C280: D2890052 00011703
	s_lshr_b32 s61, s82, 24                                    // 00000000C288: 8F3D9852
	s_and_b32 s82, s82, 0xffffff                               // 00000000C28C: 8652FF52 00FFFFFF
	s_mul_i32 s82, s82, s71                                    // 00000000C294: 92524752
	s_mul_i32 s61, s60, s61                                    // 00000000C298: 923D3D3C
	s_add_u32 s82, s82, s61                                    // 00000000C29C: 80523D52
	v_mul_lo_u32 v7, v4, s82                                   // 00000000C2A0: D2850007 0000A504
	v_add_u32_e32 v65, v6, v7                                  // 00000000C2A8: 68820F06
	v_readlane_b32 s82, v3, 12                                 // 00000000C2AC: D2890052 00011903
	s_lshr_b32 s61, s82, 24                                    // 00000000C2B4: 8F3D9852
	s_and_b32 s82, s82, 0xffffff                               // 00000000C2B8: 8652FF52 00FFFFFF
	s_mul_i32 s82, s82, s71                                    // 00000000C2C0: 92524752
	s_mul_i32 s61, s60, s61                                    // 00000000C2C4: 923D3D3C
	s_add_u32 s82, s82, s61                                    // 00000000C2C8: 80523D52
	v_mul_lo_u32 v6, v5, s82                                   // 00000000C2CC: D2850006 0000A505
	v_readlane_b32 s82, v3, 13                                 // 00000000C2D4: D2890052 00011B03
	s_lshr_b32 s61, s82, 24                                    // 00000000C2DC: 8F3D9852
	s_and_b32 s82, s82, 0xffffff                               // 00000000C2E0: 8652FF52 00FFFFFF
	s_mul_i32 s82, s82, s71                                    // 00000000C2E8: 92524752
	s_mul_i32 s61, s60, s61                                    // 00000000C2EC: 923D3D3C
	s_add_u32 s82, s82, s61                                    // 00000000C2F0: 80523D52
	v_mul_lo_u32 v7, v4, s82                                   // 00000000C2F4: D2850007 0000A504
	v_add_u32_e32 v66, v6, v7                                  // 00000000C2FC: 68840F06
	v_readlane_b32 s82, v3, 14                                 // 00000000C300: D2890052 00011D03
	s_lshr_b32 s61, s82, 24                                    // 00000000C308: 8F3D9852
	s_and_b32 s82, s82, 0xffffff                               // 00000000C30C: 8652FF52 00FFFFFF
	s_mul_i32 s82, s82, s71                                    // 00000000C314: 92524752
	s_mul_i32 s61, s60, s61                                    // 00000000C318: 923D3D3C
	s_add_u32 s82, s82, s61                                    // 00000000C31C: 80523D52
	v_mul_lo_u32 v6, v5, s82                                   // 00000000C320: D2850006 0000A505
	v_readlane_b32 s82, v3, 15                                 // 00000000C328: D2890052 00011F03
	s_lshr_b32 s61, s82, 24                                    // 00000000C330: 8F3D9852
	s_and_b32 s82, s82, 0xffffff                               // 00000000C334: 8652FF52 00FFFFFF
	s_mul_i32 s82, s82, s71                                    // 00000000C33C: 92524752
	s_mul_i32 s61, s60, s61                                    // 00000000C340: 923D3D3C
	s_add_u32 s82, s82, s61                                    // 00000000C344: 80523D52
	v_mul_lo_u32 v7, v4, s82                                   // 00000000C348: D2850007 0000A504
	v_add_u32_e32 v67, v6, v7                                  // 00000000C350: 68860F06
	v_readlane_b32 s82, v3, 16                                 // 00000000C354: D2890052 00012103
	s_lshr_b32 s61, s82, 24                                    // 00000000C35C: 8F3D9852
	s_and_b32 s82, s82, 0xffffff                               // 00000000C360: 8652FF52 00FFFFFF
	s_mul_i32 s82, s82, s71                                    // 00000000C368: 92524752
	s_mul_i32 s61, s60, s61                                    // 00000000C36C: 923D3D3C
	s_add_u32 s82, s82, s61                                    // 00000000C370: 80523D52
	v_mul_lo_u32 v6, v5, s82                                   // 00000000C374: D2850006 0000A505
	v_readlane_b32 s82, v3, 17                                 // 00000000C37C: D2890052 00012303
	s_lshr_b32 s61, s82, 24                                    // 00000000C384: 8F3D9852
	s_and_b32 s82, s82, 0xffffff                               // 00000000C388: 8652FF52 00FFFFFF
	s_mul_i32 s82, s82, s71                                    // 00000000C390: 92524752
	s_mul_i32 s61, s60, s61                                    // 00000000C394: 923D3D3C
	s_add_u32 s82, s82, s61                                    // 00000000C398: 80523D52
	v_mul_lo_u32 v7, v4, s82                                   // 00000000C39C: D2850007 0000A504
	v_add_u32_e32 v68, v6, v7                                  // 00000000C3A4: 68880F06
	v_readlane_b32 s82, v3, 18                                 // 00000000C3A8: D2890052 00012503
	s_lshr_b32 s61, s82, 24                                    // 00000000C3B0: 8F3D9852
	s_and_b32 s82, s82, 0xffffff                               // 00000000C3B4: 8652FF52 00FFFFFF
	s_mul_i32 s82, s82, s71                                    // 00000000C3BC: 92524752
	s_mul_i32 s61, s60, s61                                    // 00000000C3C0: 923D3D3C
	s_add_u32 s82, s82, s61                                    // 00000000C3C4: 80523D52
	v_mul_lo_u32 v6, v5, s82                                   // 00000000C3C8: D2850006 0000A505
	v_readlane_b32 s82, v3, 19                                 // 00000000C3D0: D2890052 00012703
	s_lshr_b32 s61, s82, 24                                    // 00000000C3D8: 8F3D9852
	s_and_b32 s82, s82, 0xffffff                               // 00000000C3DC: 8652FF52 00FFFFFF
	s_mul_i32 s82, s82, s71                                    // 00000000C3E4: 92524752
	s_mul_i32 s61, s60, s61                                    // 00000000C3E8: 923D3D3C
	s_add_u32 s82, s82, s61                                    // 00000000C3EC: 80523D52
	v_mul_lo_u32 v7, v4, s82                                   // 00000000C3F0: D2850007 0000A504
	v_add_u32_e32 v69, v6, v7                                  // 00000000C3F8: 688A0F06
	v_readlane_b32 s82, v3, 20                                 // 00000000C3FC: D2890052 00012903
	s_lshr_b32 s61, s82, 24                                    // 00000000C404: 8F3D9852
	s_and_b32 s82, s82, 0xffffff                               // 00000000C408: 8652FF52 00FFFFFF
	s_mul_i32 s82, s82, s71                                    // 00000000C410: 92524752
	s_mul_i32 s61, s60, s61                                    // 00000000C414: 923D3D3C
	s_add_u32 s82, s82, s61                                    // 00000000C418: 80523D52
	v_mul_lo_u32 v6, v5, s82                                   // 00000000C41C: D2850006 0000A505
	v_readlane_b32 s82, v3, 21                                 // 00000000C424: D2890052 00012B03
	s_lshr_b32 s61, s82, 24                                    // 00000000C42C: 8F3D9852
	s_and_b32 s82, s82, 0xffffff                               // 00000000C430: 8652FF52 00FFFFFF
	s_mul_i32 s82, s82, s71                                    // 00000000C438: 92524752
	s_mul_i32 s61, s60, s61                                    // 00000000C43C: 923D3D3C
	s_add_u32 s82, s82, s61                                    // 00000000C440: 80523D52
	v_mul_lo_u32 v7, v4, s82                                   // 00000000C444: D2850007 0000A504
	v_add_u32_e32 v70, v6, v7                                  // 00000000C44C: 688C0F06
	v_readlane_b32 s82, v3, 22                                 // 00000000C450: D2890052 00012D03
	s_lshr_b32 s61, s82, 24                                    // 00000000C458: 8F3D9852
	s_and_b32 s82, s82, 0xffffff                               // 00000000C45C: 8652FF52 00FFFFFF
	s_mul_i32 s82, s82, s71                                    // 00000000C464: 92524752
	s_mul_i32 s61, s60, s61                                    // 00000000C468: 923D3D3C
	s_add_u32 s82, s82, s61                                    // 00000000C46C: 80523D52
	v_mul_lo_u32 v6, v5, s82                                   // 00000000C470: D2850006 0000A505
	v_readlane_b32 s82, v3, 23                                 // 00000000C478: D2890052 00012F03
	s_lshr_b32 s61, s82, 24                                    // 00000000C480: 8F3D9852
	s_and_b32 s82, s82, 0xffffff                               // 00000000C484: 8652FF52 00FFFFFF
	s_mul_i32 s82, s82, s71                                    // 00000000C48C: 92524752
	s_mul_i32 s61, s60, s61                                    // 00000000C490: 923D3D3C
	s_add_u32 s82, s82, s61                                    // 00000000C494: 80523D52
	v_mul_lo_u32 v7, v4, s82                                   // 00000000C498: D2850007 0000A504
	v_add_u32_e32 v71, v6, v7                                  // 00000000C4A0: 688E0F06
	v_readlane_b32 s82, v3, 24                                 // 00000000C4A4: D2890052 00013103
	s_lshr_b32 s61, s82, 24                                    // 00000000C4AC: 8F3D9852
	s_and_b32 s82, s82, 0xffffff                               // 00000000C4B0: 8652FF52 00FFFFFF
	s_mul_i32 s82, s82, s71                                    // 00000000C4B8: 92524752
	s_mul_i32 s61, s60, s61                                    // 00000000C4BC: 923D3D3C
	s_add_u32 s82, s82, s61                                    // 00000000C4C0: 80523D52
	v_mul_lo_u32 v6, v5, s82                                   // 00000000C4C4: D2850006 0000A505
	v_readlane_b32 s82, v3, 25                                 // 00000000C4CC: D2890052 00013303
	s_lshr_b32 s61, s82, 24                                    // 00000000C4D4: 8F3D9852
	s_and_b32 s82, s82, 0xffffff                               // 00000000C4D8: 8652FF52 00FFFFFF
	s_mul_i32 s82, s82, s71                                    // 00000000C4E0: 92524752
	s_mul_i32 s61, s60, s61                                    // 00000000C4E4: 923D3D3C
	s_add_u32 s82, s82, s61                                    // 00000000C4E8: 80523D52
	v_mul_lo_u32 v7, v4, s82                                   // 00000000C4EC: D2850007 0000A504
	v_add_u32_e32 v72, v6, v7                                  // 00000000C4F4: 68900F06
	v_readlane_b32 s82, v3, 26                                 // 00000000C4F8: D2890052 00013503
	s_lshr_b32 s61, s82, 24                                    // 00000000C500: 8F3D9852
	s_and_b32 s82, s82, 0xffffff                               // 00000000C504: 8652FF52 00FFFFFF
	s_mul_i32 s82, s82, s71                                    // 00000000C50C: 92524752
	s_mul_i32 s61, s60, s61                                    // 00000000C510: 923D3D3C
	s_add_u32 s82, s82, s61                                    // 00000000C514: 80523D52
	v_mul_lo_u32 v6, v5, s82                                   // 00000000C518: D2850006 0000A505
	v_readlane_b32 s82, v3, 27                                 // 00000000C520: D2890052 00013703
	s_lshr_b32 s61, s82, 24                                    // 00000000C528: 8F3D9852
	s_and_b32 s82, s82, 0xffffff                               // 00000000C52C: 8652FF52 00FFFFFF
	s_mul_i32 s82, s82, s71                                    // 00000000C534: 92524752
	s_mul_i32 s61, s60, s61                                    // 00000000C538: 923D3D3C
	s_add_u32 s82, s82, s61                                    // 00000000C53C: 80523D52
	v_mul_lo_u32 v7, v4, s82                                   // 00000000C540: D2850007 0000A504
	v_add_u32_e32 v73, v6, v7                                  // 00000000C548: 68920F06
	v_readlane_b32 s82, v3, 28                                 // 00000000C54C: D2890052 00013903
	s_lshr_b32 s61, s82, 24                                    // 00000000C554: 8F3D9852
	s_and_b32 s82, s82, 0xffffff                               // 00000000C558: 8652FF52 00FFFFFF
	s_mul_i32 s82, s82, s71                                    // 00000000C560: 92524752
	s_mul_i32 s61, s60, s61                                    // 00000000C564: 923D3D3C
	s_add_u32 s82, s82, s61                                    // 00000000C568: 80523D52
	v_mul_lo_u32 v6, v5, s82                                   // 00000000C56C: D2850006 0000A505
	v_readlane_b32 s82, v3, 29                                 // 00000000C574: D2890052 00013B03
	s_lshr_b32 s61, s82, 24                                    // 00000000C57C: 8F3D9852
	s_and_b32 s82, s82, 0xffffff                               // 00000000C580: 8652FF52 00FFFFFF
	s_mul_i32 s82, s82, s71                                    // 00000000C588: 92524752
	s_mul_i32 s61, s60, s61                                    // 00000000C58C: 923D3D3C
	s_add_u32 s82, s82, s61                                    // 00000000C590: 80523D52
	v_mul_lo_u32 v7, v4, s82                                   // 00000000C594: D2850007 0000A504
	v_add_u32_e32 v74, v6, v7                                  // 00000000C59C: 68940F06
	v_readlane_b32 s82, v3, 30                                 // 00000000C5A0: D2890052 00013D03
	s_lshr_b32 s61, s82, 24                                    // 00000000C5A8: 8F3D9852
	s_and_b32 s82, s82, 0xffffff                               // 00000000C5AC: 8652FF52 00FFFFFF
	s_mul_i32 s82, s82, s71                                    // 00000000C5B4: 92524752
	s_mul_i32 s61, s60, s61                                    // 00000000C5B8: 923D3D3C
	s_add_u32 s82, s82, s61                                    // 00000000C5BC: 80523D52
	v_mul_lo_u32 v6, v5, s82                                   // 00000000C5C0: D2850006 0000A505
	v_readlane_b32 s82, v3, 31                                 // 00000000C5C8: D2890052 00013F03
	s_lshr_b32 s61, s82, 24                                    // 00000000C5D0: 8F3D9852
	s_and_b32 s82, s82, 0xffffff                               // 00000000C5D4: 8652FF52 00FFFFFF
	s_mul_i32 s82, s82, s71                                    // 00000000C5DC: 92524752
	s_mul_i32 s61, s60, s61                                    // 00000000C5E0: 923D3D3C
	s_add_u32 s82, s82, s61                                    // 00000000C5E4: 80523D52
	v_mul_lo_u32 v7, v4, s82                                   // 00000000C5E8: D2850007 0000A504
	v_add_u32_e32 v75, v6, v7                                  // 00000000C5F0: 68960F06
	v_and_b32_e32 v4, 31, v0                                   // 00000000C5F4: 2608009F
	v_lshrrev_b32_e32 v4, 1, v4                                // 00000000C5F8: 20080881
	s_cmp_eq_u32 s88, 0                                        // 00000000C5FC: BF068058
	s_cselect_b32 s61, 2, 4                                    // 00000000C600: 853D8482
	v_mul_lo_u32 v4, v4, s61                                   // 00000000C604: D2850004 00007B04
	v_and_b32_e64 v5, v0, 1                                    // 00000000C60C: D1130005 00010300
	v_add_u32_e32 v4, v4, v5                                   // 00000000C614: 68080B04
	v_lshlrev_b32_e32 v4, 2, v4                                // 00000000C618: 24080882
	v_add_u32_e32 v60, v60, v4                                 // 00000000C61C: 6878093C
	v_add_u32_e32 v61, v61, v4                                 // 00000000C620: 687A093D
	v_add_u32_e32 v62, v62, v4                                 // 00000000C624: 687C093E
	v_add_u32_e32 v63, v63, v4                                 // 00000000C628: 687E093F
	v_add_u32_e32 v64, v64, v4                                 // 00000000C62C: 68800940
	v_add_u32_e32 v65, v65, v4                                 // 00000000C630: 68820941
	v_add_u32_e32 v66, v66, v4                                 // 00000000C634: 68840942
	v_add_u32_e32 v67, v67, v4                                 // 00000000C638: 68860943
	v_add_u32_e32 v68, v68, v4                                 // 00000000C63C: 68880944
	v_add_u32_e32 v69, v69, v4                                 // 00000000C640: 688A0945
	v_add_u32_e32 v70, v70, v4                                 // 00000000C644: 688C0946
	v_add_u32_e32 v71, v71, v4                                 // 00000000C648: 688E0947
	v_add_u32_e32 v72, v72, v4                                 // 00000000C64C: 68900948
	v_add_u32_e32 v73, v73, v4                                 // 00000000C650: 68920949
	v_add_u32_e32 v74, v74, v4                                 // 00000000C654: 6894094A
	v_add_u32_e32 v75, v75, v4                                 // 00000000C658: 6896094B
	s_waitcnt lgkmcnt(0)                                       // 00000000C65C: BF8CC07F
	s_barrier                                                  // 00000000C660: BF8A0000
	ds_read_b32 v80, v21                                       // 00000000C664: D86C0000 50000015
	ds_read_b32 v81, v21 offset:64                             // 00000000C66C: D86C0040 51000015
	ds_read_b32 v82, v21 offset:2176                           // 00000000C674: D86C0880 52000015
	ds_read_b32 v83, v21 offset:2240                           // 00000000C67C: D86C08C0 53000015
	ds_read_b32 v84, v21 offset:4352                           // 00000000C684: D86C1100 54000015
	ds_read_b32 v85, v21 offset:4416                           // 00000000C68C: D86C1140 55000015
	ds_read_b32 v86, v21 offset:6528                           // 00000000C694: D86C1980 56000015
	ds_read_b32 v87, v21 offset:6592                           // 00000000C69C: D86C19C0 57000015
	ds_read_b32 v88, v21 offset:8704                           // 00000000C6A4: D86C2200 58000015
	ds_read_b32 v89, v21 offset:8768                           // 00000000C6AC: D86C2240 59000015
	ds_read_b32 v90, v21 offset:10880                          // 00000000C6B4: D86C2A80 5A000015
	ds_read_b32 v91, v21 offset:10944                          // 00000000C6BC: D86C2AC0 5B000015
	ds_read_b32 v92, v21 offset:13056                          // 00000000C6C4: D86C3300 5C000015
	ds_read_b32 v93, v21 offset:13120                          // 00000000C6CC: D86C3340 5D000015
	ds_read_b32 v94, v21 offset:15232                          // 00000000C6D4: D86C3B80 5E000015
	ds_read_b32 v95, v21 offset:15296                          // 00000000C6DC: D86C3BC0 5F000015
	ds_read_b32 v96, v21 offset:17408                          // 00000000C6E4: D86C4400 60000015
	ds_read_b32 v97, v21 offset:17472                          // 00000000C6EC: D86C4440 61000015
	ds_read_b32 v98, v21 offset:19584                          // 00000000C6F4: D86C4C80 62000015
	ds_read_b32 v99, v21 offset:19648                          // 00000000C6FC: D86C4CC0 63000015
	ds_read_b32 v100, v21 offset:21760                         // 00000000C704: D86C5500 64000015
	ds_read_b32 v101, v21 offset:21824                         // 00000000C70C: D86C5540 65000015
	ds_read_b32 v102, v21 offset:23936                         // 00000000C714: D86C5D80 66000015
	ds_read_b32 v103, v21 offset:24000                         // 00000000C71C: D86C5DC0 67000015
	ds_read_b32 v104, v21 offset:26112                         // 00000000C724: D86C6600 68000015
	ds_read_b32 v105, v21 offset:26176                         // 00000000C72C: D86C6640 69000015
	ds_read_b32 v106, v21 offset:28288                         // 00000000C734: D86C6E80 6A000015
	ds_read_b32 v107, v21 offset:28352                         // 00000000C73C: D86C6EC0 6B000015
	ds_read_b32 v108, v21 offset:30464                         // 00000000C744: D86C7700 6C000015
	ds_read_b32 v109, v21 offset:30528                         // 00000000C74C: D86C7740 6D000015
	ds_read_b32 v110, v21 offset:32640                         // 00000000C754: D86C7F80 6E000015
	ds_read_b32 v111, v21 offset:32704                         // 00000000C75C: D86C7FC0 6F000015
	s_waitcnt lgkmcnt(0)                                       // 00000000C764: BF8CC07F
	s_mov_b32 s36, -1                                          // 00000000C768: BEA400C1
	s_mov_b32 s37, -1                                          // 00000000C76C: BEA500C1
	v_mov_b32_e32 v7, 0                                        // 00000000C770: 7E0E0280
	s_or_b32 s9, s9, 0x40000                                   // 00000000C774: 8709FF09 00040000
	s_mov_b64 exec, s[36:37]                                   // 00000000C77C: BEFE0124
	v_mov_b32_e32 v6, v60                                      // 00000000C780: 7E0C033C
	s_mov_b64 s[60:61], 0                                      // 00000000C784: BEBC0180
	v_readlane_b32 s82, v3, 0                                  // 00000000C788: D2890052 00010103
	s_and_b32 s82, s82, 0xffffff                               // 00000000C790: 8652FF52 00FFFFFF
	s_cmp_lt_u32 s82, s66                                      // 00000000C798: BF0A4252
	s_cselect_b32 s20, s36, s60                                // 00000000C79C: 85143C24
	v_readlane_b32 s82, v3, 1                                  // 00000000C7A0: D2890052 00010303
	s_and_b32 s82, s82, 0xffffff                               // 00000000C7A8: 8652FF52 00FFFFFF
	s_cmp_lt_u32 s82, s66                                      // 00000000C7B0: BF0A4252
	s_cselect_b32 s21, s36, s60                                // 00000000C7B4: 85153C24
	s_mov_b64 exec, s[20:21]                                   // 00000000C7B8: BEFE0114
	buffer_store_dword v80, v6, s[8:11], 0 offen               // 00000000C7BC: E0701000 80025006
	buffer_store_dword v82, v6, s[8:11], 0 offen offset:128    // 00000000C7C4: E0701080 80025206
	s_mov_b64 exec, s[36:37]                                   // 00000000C7CC: BEFE0124
	v_mov_b32_e32 v6, v61                                      // 00000000C7D0: 7E0C033D
	s_mov_b64 s[60:61], 0                                      // 00000000C7D4: BEBC0180
	v_readlane_b32 s82, v3, 2                                  // 00000000C7D8: D2890052 00010503
	s_and_b32 s82, s82, 0xffffff                               // 00000000C7E0: 8652FF52 00FFFFFF
	s_cmp_lt_u32 s82, s66                                      // 00000000C7E8: BF0A4252
	s_cselect_b32 s20, s36, s60                                // 00000000C7EC: 85143C24
	v_readlane_b32 s82, v3, 3                                  // 00000000C7F0: D2890052 00010703
	s_and_b32 s82, s82, 0xffffff                               // 00000000C7F8: 8652FF52 00FFFFFF
	s_cmp_lt_u32 s82, s66                                      // 00000000C800: BF0A4252
	s_cselect_b32 s21, s36, s60                                // 00000000C804: 85153C24
	s_mov_b64 exec, s[20:21]                                   // 00000000C808: BEFE0114
	buffer_store_dword v81, v6, s[8:11], 0 offen               // 00000000C80C: E0701000 80025106
	buffer_store_dword v83, v6, s[8:11], 0 offen offset:128    // 00000000C814: E0701080 80025306
	s_mov_b64 exec, s[36:37]                                   // 00000000C81C: BEFE0124
	v_mov_b32_e32 v6, v62                                      // 00000000C820: 7E0C033E
	s_mov_b64 s[60:61], 0                                      // 00000000C824: BEBC0180
	v_readlane_b32 s82, v3, 4                                  // 00000000C828: D2890052 00010903
	s_and_b32 s82, s82, 0xffffff                               // 00000000C830: 8652FF52 00FFFFFF
	s_cmp_lt_u32 s82, s66                                      // 00000000C838: BF0A4252
	s_cselect_b32 s20, s36, s60                                // 00000000C83C: 85143C24
	v_readlane_b32 s82, v3, 5                                  // 00000000C840: D2890052 00010B03
	s_and_b32 s82, s82, 0xffffff                               // 00000000C848: 8652FF52 00FFFFFF
	s_cmp_lt_u32 s82, s66                                      // 00000000C850: BF0A4252
	s_cselect_b32 s21, s36, s60                                // 00000000C854: 85153C24
	s_mov_b64 exec, s[20:21]                                   // 00000000C858: BEFE0114
	buffer_store_dword v84, v6, s[8:11], 0 offen               // 00000000C85C: E0701000 80025406
	buffer_store_dword v86, v6, s[8:11], 0 offen offset:128    // 00000000C864: E0701080 80025606
	s_mov_b64 exec, s[36:37]                                   // 00000000C86C: BEFE0124
	v_mov_b32_e32 v6, v63                                      // 00000000C870: 7E0C033F
	s_mov_b64 s[60:61], 0                                      // 00000000C874: BEBC0180
	v_readlane_b32 s82, v3, 6                                  // 00000000C878: D2890052 00010D03
	s_and_b32 s82, s82, 0xffffff                               // 00000000C880: 8652FF52 00FFFFFF
	s_cmp_lt_u32 s82, s66                                      // 00000000C888: BF0A4252
	s_cselect_b32 s20, s36, s60                                // 00000000C88C: 85143C24
	v_readlane_b32 s82, v3, 7                                  // 00000000C890: D2890052 00010F03
	s_and_b32 s82, s82, 0xffffff                               // 00000000C898: 8652FF52 00FFFFFF
	s_cmp_lt_u32 s82, s66                                      // 00000000C8A0: BF0A4252
	s_cselect_b32 s21, s36, s60                                // 00000000C8A4: 85153C24
	s_mov_b64 exec, s[20:21]                                   // 00000000C8A8: BEFE0114
	buffer_store_dword v85, v6, s[8:11], 0 offen               // 00000000C8AC: E0701000 80025506
	buffer_store_dword v87, v6, s[8:11], 0 offen offset:128    // 00000000C8B4: E0701080 80025706
	s_mov_b64 exec, s[36:37]                                   // 00000000C8BC: BEFE0124
	v_mov_b32_e32 v6, v64                                      // 00000000C8C0: 7E0C0340
	s_mov_b64 s[60:61], 0                                      // 00000000C8C4: BEBC0180
	v_readlane_b32 s82, v3, 8                                  // 00000000C8C8: D2890052 00011103
	s_and_b32 s82, s82, 0xffffff                               // 00000000C8D0: 8652FF52 00FFFFFF
	s_cmp_lt_u32 s82, s66                                      // 00000000C8D8: BF0A4252
	s_cselect_b32 s20, s36, s60                                // 00000000C8DC: 85143C24
	v_readlane_b32 s82, v3, 9                                  // 00000000C8E0: D2890052 00011303
	s_and_b32 s82, s82, 0xffffff                               // 00000000C8E8: 8652FF52 00FFFFFF
	s_cmp_lt_u32 s82, s66                                      // 00000000C8F0: BF0A4252
	s_cselect_b32 s21, s36, s60                                // 00000000C8F4: 85153C24
	s_mov_b64 exec, s[20:21]                                   // 00000000C8F8: BEFE0114
	buffer_store_dword v88, v6, s[8:11], 0 offen               // 00000000C8FC: E0701000 80025806
	buffer_store_dword v90, v6, s[8:11], 0 offen offset:128    // 00000000C904: E0701080 80025A06
	s_mov_b64 exec, s[36:37]                                   // 00000000C90C: BEFE0124
	v_mov_b32_e32 v6, v65                                      // 00000000C910: 7E0C0341
	s_mov_b64 s[60:61], 0                                      // 00000000C914: BEBC0180
	v_readlane_b32 s82, v3, 10                                 // 00000000C918: D2890052 00011503
	s_and_b32 s82, s82, 0xffffff                               // 00000000C920: 8652FF52 00FFFFFF
	s_cmp_lt_u32 s82, s66                                      // 00000000C928: BF0A4252
	s_cselect_b32 s20, s36, s60                                // 00000000C92C: 85143C24
	v_readlane_b32 s82, v3, 11                                 // 00000000C930: D2890052 00011703
	s_and_b32 s82, s82, 0xffffff                               // 00000000C938: 8652FF52 00FFFFFF
	s_cmp_lt_u32 s82, s66                                      // 00000000C940: BF0A4252
	s_cselect_b32 s21, s36, s60                                // 00000000C944: 85153C24
	s_mov_b64 exec, s[20:21]                                   // 00000000C948: BEFE0114
	buffer_store_dword v89, v6, s[8:11], 0 offen               // 00000000C94C: E0701000 80025906
	buffer_store_dword v91, v6, s[8:11], 0 offen offset:128    // 00000000C954: E0701080 80025B06
	s_mov_b64 exec, s[36:37]                                   // 00000000C95C: BEFE0124
	v_mov_b32_e32 v6, v66                                      // 00000000C960: 7E0C0342
	s_mov_b64 s[60:61], 0                                      // 00000000C964: BEBC0180
	v_readlane_b32 s82, v3, 12                                 // 00000000C968: D2890052 00011903
	s_and_b32 s82, s82, 0xffffff                               // 00000000C970: 8652FF52 00FFFFFF
	s_cmp_lt_u32 s82, s66                                      // 00000000C978: BF0A4252
	s_cselect_b32 s20, s36, s60                                // 00000000C97C: 85143C24
	v_readlane_b32 s82, v3, 13                                 // 00000000C980: D2890052 00011B03
	s_and_b32 s82, s82, 0xffffff                               // 00000000C988: 8652FF52 00FFFFFF
	s_cmp_lt_u32 s82, s66                                      // 00000000C990: BF0A4252
	s_cselect_b32 s21, s36, s60                                // 00000000C994: 85153C24
	s_mov_b64 exec, s[20:21]                                   // 00000000C998: BEFE0114
	buffer_store_dword v92, v6, s[8:11], 0 offen               // 00000000C99C: E0701000 80025C06
	buffer_store_dword v94, v6, s[8:11], 0 offen offset:128    // 00000000C9A4: E0701080 80025E06
	s_mov_b64 exec, s[36:37]                                   // 00000000C9AC: BEFE0124
	v_mov_b32_e32 v6, v67                                      // 00000000C9B0: 7E0C0343
	s_mov_b64 s[60:61], 0                                      // 00000000C9B4: BEBC0180
	v_readlane_b32 s82, v3, 14                                 // 00000000C9B8: D2890052 00011D03
	s_and_b32 s82, s82, 0xffffff                               // 00000000C9C0: 8652FF52 00FFFFFF
	s_cmp_lt_u32 s82, s66                                      // 00000000C9C8: BF0A4252
	s_cselect_b32 s20, s36, s60                                // 00000000C9CC: 85143C24
	v_readlane_b32 s82, v3, 15                                 // 00000000C9D0: D2890052 00011F03
	s_and_b32 s82, s82, 0xffffff                               // 00000000C9D8: 8652FF52 00FFFFFF
	s_cmp_lt_u32 s82, s66                                      // 00000000C9E0: BF0A4252
	s_cselect_b32 s21, s36, s60                                // 00000000C9E4: 85153C24
	s_mov_b64 exec, s[20:21]                                   // 00000000C9E8: BEFE0114
	buffer_store_dword v93, v6, s[8:11], 0 offen               // 00000000C9EC: E0701000 80025D06
	buffer_store_dword v95, v6, s[8:11], 0 offen offset:128    // 00000000C9F4: E0701080 80025F06
	s_mov_b64 exec, s[36:37]                                   // 00000000C9FC: BEFE0124
	v_mov_b32_e32 v6, v68                                      // 00000000CA00: 7E0C0344
	s_mov_b64 s[60:61], 0                                      // 00000000CA04: BEBC0180
	v_readlane_b32 s82, v3, 16                                 // 00000000CA08: D2890052 00012103
	s_and_b32 s82, s82, 0xffffff                               // 00000000CA10: 8652FF52 00FFFFFF
	s_cmp_lt_u32 s82, s66                                      // 00000000CA18: BF0A4252
	s_cselect_b32 s20, s36, s60                                // 00000000CA1C: 85143C24
	v_readlane_b32 s82, v3, 17                                 // 00000000CA20: D2890052 00012303
	s_and_b32 s82, s82, 0xffffff                               // 00000000CA28: 8652FF52 00FFFFFF
	s_cmp_lt_u32 s82, s66                                      // 00000000CA30: BF0A4252
	s_cselect_b32 s21, s36, s60                                // 00000000CA34: 85153C24
	s_mov_b64 exec, s[20:21]                                   // 00000000CA38: BEFE0114
	buffer_store_dword v96, v6, s[8:11], 0 offen               // 00000000CA3C: E0701000 80026006
	buffer_store_dword v98, v6, s[8:11], 0 offen offset:128    // 00000000CA44: E0701080 80026206
	s_mov_b64 exec, s[36:37]                                   // 00000000CA4C: BEFE0124
	v_mov_b32_e32 v6, v69                                      // 00000000CA50: 7E0C0345
	s_mov_b64 s[60:61], 0                                      // 00000000CA54: BEBC0180
	v_readlane_b32 s82, v3, 18                                 // 00000000CA58: D2890052 00012503
	s_and_b32 s82, s82, 0xffffff                               // 00000000CA60: 8652FF52 00FFFFFF
	s_cmp_lt_u32 s82, s66                                      // 00000000CA68: BF0A4252
	s_cselect_b32 s20, s36, s60                                // 00000000CA6C: 85143C24
	v_readlane_b32 s82, v3, 19                                 // 00000000CA70: D2890052 00012703
	s_and_b32 s82, s82, 0xffffff                               // 00000000CA78: 8652FF52 00FFFFFF
	s_cmp_lt_u32 s82, s66                                      // 00000000CA80: BF0A4252
	s_cselect_b32 s21, s36, s60                                // 00000000CA84: 85153C24
	s_mov_b64 exec, s[20:21]                                   // 00000000CA88: BEFE0114
	buffer_store_dword v97, v6, s[8:11], 0 offen               // 00000000CA8C: E0701000 80026106
	buffer_store_dword v99, v6, s[8:11], 0 offen offset:128    // 00000000CA94: E0701080 80026306
	s_mov_b64 exec, s[36:37]                                   // 00000000CA9C: BEFE0124
	v_mov_b32_e32 v6, v70                                      // 00000000CAA0: 7E0C0346
	s_mov_b64 s[60:61], 0                                      // 00000000CAA4: BEBC0180
	v_readlane_b32 s82, v3, 20                                 // 00000000CAA8: D2890052 00012903
	s_and_b32 s82, s82, 0xffffff                               // 00000000CAB0: 8652FF52 00FFFFFF
	s_cmp_lt_u32 s82, s66                                      // 00000000CAB8: BF0A4252
	s_cselect_b32 s20, s36, s60                                // 00000000CABC: 85143C24
	v_readlane_b32 s82, v3, 21                                 // 00000000CAC0: D2890052 00012B03
	s_and_b32 s82, s82, 0xffffff                               // 00000000CAC8: 8652FF52 00FFFFFF
	s_cmp_lt_u32 s82, s66                                      // 00000000CAD0: BF0A4252
	s_cselect_b32 s21, s36, s60                                // 00000000CAD4: 85153C24
	s_mov_b64 exec, s[20:21]                                   // 00000000CAD8: BEFE0114
	buffer_store_dword v100, v6, s[8:11], 0 offen              // 00000000CADC: E0701000 80026406
	buffer_store_dword v102, v6, s[8:11], 0 offen offset:128   // 00000000CAE4: E0701080 80026606
	s_mov_b64 exec, s[36:37]                                   // 00000000CAEC: BEFE0124
	v_mov_b32_e32 v6, v71                                      // 00000000CAF0: 7E0C0347
	s_mov_b64 s[60:61], 0                                      // 00000000CAF4: BEBC0180
	v_readlane_b32 s82, v3, 22                                 // 00000000CAF8: D2890052 00012D03
	s_and_b32 s82, s82, 0xffffff                               // 00000000CB00: 8652FF52 00FFFFFF
	s_cmp_lt_u32 s82, s66                                      // 00000000CB08: BF0A4252
	s_cselect_b32 s20, s36, s60                                // 00000000CB0C: 85143C24
	v_readlane_b32 s82, v3, 23                                 // 00000000CB10: D2890052 00012F03
	s_and_b32 s82, s82, 0xffffff                               // 00000000CB18: 8652FF52 00FFFFFF
	s_cmp_lt_u32 s82, s66                                      // 00000000CB20: BF0A4252
	s_cselect_b32 s21, s36, s60                                // 00000000CB24: 85153C24
	s_mov_b64 exec, s[20:21]                                   // 00000000CB28: BEFE0114
	buffer_store_dword v101, v6, s[8:11], 0 offen              // 00000000CB2C: E0701000 80026506
	buffer_store_dword v103, v6, s[8:11], 0 offen offset:128   // 00000000CB34: E0701080 80026706
	s_mov_b64 exec, s[36:37]                                   // 00000000CB3C: BEFE0124
	v_mov_b32_e32 v6, v72                                      // 00000000CB40: 7E0C0348
	s_mov_b64 s[60:61], 0                                      // 00000000CB44: BEBC0180
	v_readlane_b32 s82, v3, 24                                 // 00000000CB48: D2890052 00013103
	s_and_b32 s82, s82, 0xffffff                               // 00000000CB50: 8652FF52 00FFFFFF
	s_cmp_lt_u32 s82, s66                                      // 00000000CB58: BF0A4252
	s_cselect_b32 s20, s36, s60                                // 00000000CB5C: 85143C24
	v_readlane_b32 s82, v3, 25                                 // 00000000CB60: D2890052 00013303
	s_and_b32 s82, s82, 0xffffff                               // 00000000CB68: 8652FF52 00FFFFFF
	s_cmp_lt_u32 s82, s66                                      // 00000000CB70: BF0A4252
	s_cselect_b32 s21, s36, s60                                // 00000000CB74: 85153C24
	s_mov_b64 exec, s[20:21]                                   // 00000000CB78: BEFE0114
	buffer_store_dword v104, v6, s[8:11], 0 offen              // 00000000CB7C: E0701000 80026806
	buffer_store_dword v106, v6, s[8:11], 0 offen offset:128   // 00000000CB84: E0701080 80026A06
	s_mov_b64 exec, s[36:37]                                   // 00000000CB8C: BEFE0124
	v_mov_b32_e32 v6, v73                                      // 00000000CB90: 7E0C0349
	s_mov_b64 s[60:61], 0                                      // 00000000CB94: BEBC0180
	v_readlane_b32 s82, v3, 26                                 // 00000000CB98: D2890052 00013503
	s_and_b32 s82, s82, 0xffffff                               // 00000000CBA0: 8652FF52 00FFFFFF
	s_cmp_lt_u32 s82, s66                                      // 00000000CBA8: BF0A4252
	s_cselect_b32 s20, s36, s60                                // 00000000CBAC: 85143C24
	v_readlane_b32 s82, v3, 27                                 // 00000000CBB0: D2890052 00013703
	s_and_b32 s82, s82, 0xffffff                               // 00000000CBB8: 8652FF52 00FFFFFF
	s_cmp_lt_u32 s82, s66                                      // 00000000CBC0: BF0A4252
	s_cselect_b32 s21, s36, s60                                // 00000000CBC4: 85153C24
	s_mov_b64 exec, s[20:21]                                   // 00000000CBC8: BEFE0114
	buffer_store_dword v105, v6, s[8:11], 0 offen              // 00000000CBCC: E0701000 80026906
	buffer_store_dword v107, v6, s[8:11], 0 offen offset:128   // 00000000CBD4: E0701080 80026B06
	s_mov_b64 exec, s[36:37]                                   // 00000000CBDC: BEFE0124
	v_mov_b32_e32 v6, v74                                      // 00000000CBE0: 7E0C034A
	s_mov_b64 s[60:61], 0                                      // 00000000CBE4: BEBC0180
	v_readlane_b32 s82, v3, 28                                 // 00000000CBE8: D2890052 00013903
	s_and_b32 s82, s82, 0xffffff                               // 00000000CBF0: 8652FF52 00FFFFFF
	s_cmp_lt_u32 s82, s66                                      // 00000000CBF8: BF0A4252
	s_cselect_b32 s20, s36, s60                                // 00000000CBFC: 85143C24
	v_readlane_b32 s82, v3, 29                                 // 00000000CC00: D2890052 00013B03
	s_and_b32 s82, s82, 0xffffff                               // 00000000CC08: 8652FF52 00FFFFFF
	s_cmp_lt_u32 s82, s66                                      // 00000000CC10: BF0A4252
	s_cselect_b32 s21, s36, s60                                // 00000000CC14: 85153C24
	s_mov_b64 exec, s[20:21]                                   // 00000000CC18: BEFE0114
	buffer_store_dword v108, v6, s[8:11], 0 offen              // 00000000CC1C: E0701000 80026C06
	buffer_store_dword v110, v6, s[8:11], 0 offen offset:128   // 00000000CC24: E0701080 80026E06
	s_mov_b64 exec, s[36:37]                                   // 00000000CC2C: BEFE0124
	v_mov_b32_e32 v6, v75                                      // 00000000CC30: 7E0C034B
	s_mov_b64 s[60:61], 0                                      // 00000000CC34: BEBC0180
	v_readlane_b32 s82, v3, 30                                 // 00000000CC38: D2890052 00013D03
	s_and_b32 s82, s82, 0xffffff                               // 00000000CC40: 8652FF52 00FFFFFF
	s_cmp_lt_u32 s82, s66                                      // 00000000CC48: BF0A4252
	s_cselect_b32 s20, s36, s60                                // 00000000CC4C: 85143C24
	v_readlane_b32 s82, v3, 31                                 // 00000000CC50: D2890052 00013F03
	s_and_b32 s82, s82, 0xffffff                               // 00000000CC58: 8652FF52 00FFFFFF
	s_cmp_lt_u32 s82, s66                                      // 00000000CC60: BF0A4252
	s_cselect_b32 s21, s36, s60                                // 00000000CC64: 85153C24
	s_mov_b64 exec, s[20:21]                                   // 00000000CC68: BEFE0114
	buffer_store_dword v109, v6, s[8:11], 0 offen              // 00000000CC6C: E0701000 80026D06
	buffer_store_dword v111, v6, s[8:11], 0 offen offset:128   // 00000000CC74: E0701080 80026F06
	s_mov_b64 exec, s[36:37]                                   // 00000000CC7C: BEFE0124
	s_branch label_30AE                                        // 00000000CC80: BF82080A

000000000000cc84 <label_28A4>:
	ds_write_b64 v20, v[80:81]                                 // 00000000CC84: D89A0000 00005014
	ds_write_b64 v20, v[84:85] offset:4352                     // 00000000CC8C: D89A1100 00005414
	ds_write_b64 v20, v[88:89] offset:8704                     // 00000000CC94: D89A2200 00005814
	ds_write_b64 v20, v[92:93] offset:13056                    // 00000000CC9C: D89A3300 00005C14
	ds_write_b64 v20, v[96:97] offset:17408                    // 00000000CCA4: D89A4400 00006014
	ds_write_b64 v20, v[100:101] offset:21760                  // 00000000CCAC: D89A5500 00006414
	ds_write_b64 v20, v[104:105] offset:26112                  // 00000000CCB4: D89A6600 00006814
	ds_write_b64 v20, v[108:109] offset:30464                  // 00000000CCBC: D89A7700 00006C14
	ds_write_b64 v20, v[112:113] offset:2176                   // 00000000CCC4: D89A0880 00007014
	ds_write_b64 v20, v[116:117] offset:6528                   // 00000000CCCC: D89A1980 00007414
	ds_write_b64 v20, v[120:121] offset:10880                  // 00000000CCD4: D89A2A80 00007814
	ds_write_b64 v20, v[124:125] offset:15232                  // 00000000CCDC: D89A3B80 00007C14
	ds_write_b64 v20, v[128:129] offset:19584                  // 00000000CCE4: D89A4C80 00008014
	ds_write_b64 v20, v[132:133] offset:23936                  // 00000000CCEC: D89A5D80 00008414
	ds_write_b64 v20, v[136:137] offset:28288                  // 00000000CCF4: D89A6E80 00008814
	ds_write_b64 v20, v[140:141] offset:32640                  // 00000000CCFC: D89A7F80 00008C14
	v_lshrrev_b32_e32 v4, 5, v0                                // 00000000CD04: 20080085
	v_xor_b32_e32 v5, 1, v4                                    // 00000000CD08: 2A0A0881
	s_mul_i32 s60, s65, 2                                      // 00000000CD0C: 923C8241
	s_cmp_eq_u32 s88, 0                                        // 00000000CD10: BF068058
	s_cselect_b32 s61, 1, 4                                    // 00000000CD14: 853D8481
	s_mul_i32 s60, s61, s60                                    // 00000000CD18: 923C3C3D
	v_readlane_b32 s82, v3, 0                                  // 00000000CD1C: D2890052 00010103
	s_lshr_b32 s61, s82, 24                                    // 00000000CD24: 8F3D9852
	s_and_b32 s82, s82, 0xffffff                               // 00000000CD28: 8652FF52 00FFFFFF
	s_mul_i32 s82, s82, s71                                    // 00000000CD30: 92524752
	s_mul_i32 s61, s60, s61                                    // 00000000CD34: 923D3D3C
	s_add_u32 s82, s82, s61                                    // 00000000CD38: 80523D52
	v_mul_lo_u32 v6, v5, s82                                   // 00000000CD3C: D2850006 0000A505
	v_readlane_b32 s82, v3, 1                                  // 00000000CD44: D2890052 00010303
	s_lshr_b32 s61, s82, 24                                    // 00000000CD4C: 8F3D9852
	s_and_b32 s82, s82, 0xffffff                               // 00000000CD50: 8652FF52 00FFFFFF
	s_mul_i32 s82, s82, s71                                    // 00000000CD58: 92524752
	s_mul_i32 s61, s60, s61                                    // 00000000CD5C: 923D3D3C
	s_add_u32 s82, s82, s61                                    // 00000000CD60: 80523D52
	v_mul_lo_u32 v7, v4, s82                                   // 00000000CD64: D2850007 0000A504
	v_add_u32_e32 v60, v6, v7                                  // 00000000CD6C: 68780F06
	v_readlane_b32 s82, v3, 2                                  // 00000000CD70: D2890052 00010503
	s_lshr_b32 s61, s82, 24                                    // 00000000CD78: 8F3D9852
	s_and_b32 s82, s82, 0xffffff                               // 00000000CD7C: 8652FF52 00FFFFFF
	s_mul_i32 s82, s82, s71                                    // 00000000CD84: 92524752
	s_mul_i32 s61, s60, s61                                    // 00000000CD88: 923D3D3C
	s_add_u32 s82, s82, s61                                    // 00000000CD8C: 80523D52
	v_mul_lo_u32 v6, v5, s82                                   // 00000000CD90: D2850006 0000A505
	v_readlane_b32 s82, v3, 3                                  // 00000000CD98: D2890052 00010703
	s_lshr_b32 s61, s82, 24                                    // 00000000CDA0: 8F3D9852
	s_and_b32 s82, s82, 0xffffff                               // 00000000CDA4: 8652FF52 00FFFFFF
	s_mul_i32 s82, s82, s71                                    // 00000000CDAC: 92524752
	s_mul_i32 s61, s60, s61                                    // 00000000CDB0: 923D3D3C
	s_add_u32 s82, s82, s61                                    // 00000000CDB4: 80523D52
	v_mul_lo_u32 v7, v4, s82                                   // 00000000CDB8: D2850007 0000A504
	v_add_u32_e32 v61, v6, v7                                  // 00000000CDC0: 687A0F06
	v_readlane_b32 s82, v3, 4                                  // 00000000CDC4: D2890052 00010903
	s_lshr_b32 s61, s82, 24                                    // 00000000CDCC: 8F3D9852
	s_and_b32 s82, s82, 0xffffff                               // 00000000CDD0: 8652FF52 00FFFFFF
	s_mul_i32 s82, s82, s71                                    // 00000000CDD8: 92524752
	s_mul_i32 s61, s60, s61                                    // 00000000CDDC: 923D3D3C
	s_add_u32 s82, s82, s61                                    // 00000000CDE0: 80523D52
	v_mul_lo_u32 v6, v5, s82                                   // 00000000CDE4: D2850006 0000A505
	v_readlane_b32 s82, v3, 5                                  // 00000000CDEC: D2890052 00010B03
	s_lshr_b32 s61, s82, 24                                    // 00000000CDF4: 8F3D9852
	s_and_b32 s82, s82, 0xffffff                               // 00000000CDF8: 8652FF52 00FFFFFF
	s_mul_i32 s82, s82, s71                                    // 00000000CE00: 92524752
	s_mul_i32 s61, s60, s61                                    // 00000000CE04: 923D3D3C
	s_add_u32 s82, s82, s61                                    // 00000000CE08: 80523D52
	v_mul_lo_u32 v7, v4, s82                                   // 00000000CE0C: D2850007 0000A504
	v_add_u32_e32 v62, v6, v7                                  // 00000000CE14: 687C0F06
	v_readlane_b32 s82, v3, 6                                  // 00000000CE18: D2890052 00010D03
	s_lshr_b32 s61, s82, 24                                    // 00000000CE20: 8F3D9852
	s_and_b32 s82, s82, 0xffffff                               // 00000000CE24: 8652FF52 00FFFFFF
	s_mul_i32 s82, s82, s71                                    // 00000000CE2C: 92524752
	s_mul_i32 s61, s60, s61                                    // 00000000CE30: 923D3D3C
	s_add_u32 s82, s82, s61                                    // 00000000CE34: 80523D52
	v_mul_lo_u32 v6, v5, s82                                   // 00000000CE38: D2850006 0000A505
	v_readlane_b32 s82, v3, 7                                  // 00000000CE40: D2890052 00010F03
	s_lshr_b32 s61, s82, 24                                    // 00000000CE48: 8F3D9852
	s_and_b32 s82, s82, 0xffffff                               // 00000000CE4C: 8652FF52 00FFFFFF
	s_mul_i32 s82, s82, s71                                    // 00000000CE54: 92524752
	s_mul_i32 s61, s60, s61                                    // 00000000CE58: 923D3D3C
	s_add_u32 s82, s82, s61                                    // 00000000CE5C: 80523D52
	v_mul_lo_u32 v7, v4, s82                                   // 00000000CE60: D2850007 0000A504
	v_add_u32_e32 v63, v6, v7                                  // 00000000CE68: 687E0F06
	v_readlane_b32 s82, v3, 8                                  // 00000000CE6C: D2890052 00011103
	s_lshr_b32 s61, s82, 24                                    // 00000000CE74: 8F3D9852
	s_and_b32 s82, s82, 0xffffff                               // 00000000CE78: 8652FF52 00FFFFFF
	s_mul_i32 s82, s82, s71                                    // 00000000CE80: 92524752
	s_mul_i32 s61, s60, s61                                    // 00000000CE84: 923D3D3C
	s_add_u32 s82, s82, s61                                    // 00000000CE88: 80523D52
	v_mul_lo_u32 v6, v5, s82                                   // 00000000CE8C: D2850006 0000A505
	v_readlane_b32 s82, v3, 9                                  // 00000000CE94: D2890052 00011303
	s_lshr_b32 s61, s82, 24                                    // 00000000CE9C: 8F3D9852
	s_and_b32 s82, s82, 0xffffff                               // 00000000CEA0: 8652FF52 00FFFFFF
	s_mul_i32 s82, s82, s71                                    // 00000000CEA8: 92524752
	s_mul_i32 s61, s60, s61                                    // 00000000CEAC: 923D3D3C
	s_add_u32 s82, s82, s61                                    // 00000000CEB0: 80523D52
	v_mul_lo_u32 v7, v4, s82                                   // 00000000CEB4: D2850007 0000A504
	v_add_u32_e32 v64, v6, v7                                  // 00000000CEBC: 68800F06
	v_readlane_b32 s82, v3, 10                                 // 00000000CEC0: D2890052 00011503
	s_lshr_b32 s61, s82, 24                                    // 00000000CEC8: 8F3D9852
	s_and_b32 s82, s82, 0xffffff                               // 00000000CECC: 8652FF52 00FFFFFF
	s_mul_i32 s82, s82, s71                                    // 00000000CED4: 92524752
	s_mul_i32 s61, s60, s61                                    // 00000000CED8: 923D3D3C
	s_add_u32 s82, s82, s61                                    // 00000000CEDC: 80523D52
	v_mul_lo_u32 v6, v5, s82                                   // 00000000CEE0: D2850006 0000A505
	v_readlane_b32 s82, v3, 11                                 // 00000000CEE8: D2890052 00011703
	s_lshr_b32 s61, s82, 24                                    // 00000000CEF0: 8F3D9852
	s_and_b32 s82, s82, 0xffffff                               // 00000000CEF4: 8652FF52 00FFFFFF
	s_mul_i32 s82, s82, s71                                    // 00000000CEFC: 92524752
	s_mul_i32 s61, s60, s61                                    // 00000000CF00: 923D3D3C
	s_add_u32 s82, s82, s61                                    // 00000000CF04: 80523D52
	v_mul_lo_u32 v7, v4, s82                                   // 00000000CF08: D2850007 0000A504
	v_add_u32_e32 v65, v6, v7                                  // 00000000CF10: 68820F06
	v_readlane_b32 s82, v3, 12                                 // 00000000CF14: D2890052 00011903
	s_lshr_b32 s61, s82, 24                                    // 00000000CF1C: 8F3D9852
	s_and_b32 s82, s82, 0xffffff                               // 00000000CF20: 8652FF52 00FFFFFF
	s_mul_i32 s82, s82, s71                                    // 00000000CF28: 92524752
	s_mul_i32 s61, s60, s61                                    // 00000000CF2C: 923D3D3C
	s_add_u32 s82, s82, s61                                    // 00000000CF30: 80523D52
	v_mul_lo_u32 v6, v5, s82                                   // 00000000CF34: D2850006 0000A505
	v_readlane_b32 s82, v3, 13                                 // 00000000CF3C: D2890052 00011B03
	s_lshr_b32 s61, s82, 24                                    // 00000000CF44: 8F3D9852
	s_and_b32 s82, s82, 0xffffff                               // 00000000CF48: 8652FF52 00FFFFFF
	s_mul_i32 s82, s82, s71                                    // 00000000CF50: 92524752
	s_mul_i32 s61, s60, s61                                    // 00000000CF54: 923D3D3C
	s_add_u32 s82, s82, s61                                    // 00000000CF58: 80523D52
	v_mul_lo_u32 v7, v4, s82                                   // 00000000CF5C: D2850007 0000A504
	v_add_u32_e32 v66, v6, v7                                  // 00000000CF64: 68840F06
	v_readlane_b32 s82, v3, 14                                 // 00000000CF68: D2890052 00011D03
	s_lshr_b32 s61, s82, 24                                    // 00000000CF70: 8F3D9852
	s_and_b32 s82, s82, 0xffffff                               // 00000000CF74: 8652FF52 00FFFFFF
	s_mul_i32 s82, s82, s71                                    // 00000000CF7C: 92524752
	s_mul_i32 s61, s60, s61                                    // 00000000CF80: 923D3D3C
	s_add_u32 s82, s82, s61                                    // 00000000CF84: 80523D52
	v_mul_lo_u32 v6, v5, s82                                   // 00000000CF88: D2850006 0000A505
	v_readlane_b32 s82, v3, 15                                 // 00000000CF90: D2890052 00011F03
	s_lshr_b32 s61, s82, 24                                    // 00000000CF98: 8F3D9852
	s_and_b32 s82, s82, 0xffffff                               // 00000000CF9C: 8652FF52 00FFFFFF
	s_mul_i32 s82, s82, s71                                    // 00000000CFA4: 92524752
	s_mul_i32 s61, s60, s61                                    // 00000000CFA8: 923D3D3C
	s_add_u32 s82, s82, s61                                    // 00000000CFAC: 80523D52
	v_mul_lo_u32 v7, v4, s82                                   // 00000000CFB0: D2850007 0000A504
	v_add_u32_e32 v67, v6, v7                                  // 00000000CFB8: 68860F06
	v_readlane_b32 s82, v3, 16                                 // 00000000CFBC: D2890052 00012103
	s_lshr_b32 s61, s82, 24                                    // 00000000CFC4: 8F3D9852
	s_and_b32 s82, s82, 0xffffff                               // 00000000CFC8: 8652FF52 00FFFFFF
	s_mul_i32 s82, s82, s71                                    // 00000000CFD0: 92524752
	s_mul_i32 s61, s60, s61                                    // 00000000CFD4: 923D3D3C
	s_add_u32 s82, s82, s61                                    // 00000000CFD8: 80523D52
	v_mul_lo_u32 v6, v5, s82                                   // 00000000CFDC: D2850006 0000A505
	v_readlane_b32 s82, v3, 17                                 // 00000000CFE4: D2890052 00012303
	s_lshr_b32 s61, s82, 24                                    // 00000000CFEC: 8F3D9852
	s_and_b32 s82, s82, 0xffffff                               // 00000000CFF0: 8652FF52 00FFFFFF
	s_mul_i32 s82, s82, s71                                    // 00000000CFF8: 92524752
	s_mul_i32 s61, s60, s61                                    // 00000000CFFC: 923D3D3C
	s_add_u32 s82, s82, s61                                    // 00000000D000: 80523D52
	v_mul_lo_u32 v7, v4, s82                                   // 00000000D004: D2850007 0000A504
	v_add_u32_e32 v68, v6, v7                                  // 00000000D00C: 68880F06
	v_readlane_b32 s82, v3, 18                                 // 00000000D010: D2890052 00012503
	s_lshr_b32 s61, s82, 24                                    // 00000000D018: 8F3D9852
	s_and_b32 s82, s82, 0xffffff                               // 00000000D01C: 8652FF52 00FFFFFF
	s_mul_i32 s82, s82, s71                                    // 00000000D024: 92524752
	s_mul_i32 s61, s60, s61                                    // 00000000D028: 923D3D3C
	s_add_u32 s82, s82, s61                                    // 00000000D02C: 80523D52
	v_mul_lo_u32 v6, v5, s82                                   // 00000000D030: D2850006 0000A505
	v_readlane_b32 s82, v3, 19                                 // 00000000D038: D2890052 00012703
	s_lshr_b32 s61, s82, 24                                    // 00000000D040: 8F3D9852
	s_and_b32 s82, s82, 0xffffff                               // 00000000D044: 8652FF52 00FFFFFF
	s_mul_i32 s82, s82, s71                                    // 00000000D04C: 92524752
	s_mul_i32 s61, s60, s61                                    // 00000000D050: 923D3D3C
	s_add_u32 s82, s82, s61                                    // 00000000D054: 80523D52
	v_mul_lo_u32 v7, v4, s82                                   // 00000000D058: D2850007 0000A504
	v_add_u32_e32 v69, v6, v7                                  // 00000000D060: 688A0F06
	v_readlane_b32 s82, v3, 20                                 // 00000000D064: D2890052 00012903
	s_lshr_b32 s61, s82, 24                                    // 00000000D06C: 8F3D9852
	s_and_b32 s82, s82, 0xffffff                               // 00000000D070: 8652FF52 00FFFFFF
	s_mul_i32 s82, s82, s71                                    // 00000000D078: 92524752
	s_mul_i32 s61, s60, s61                                    // 00000000D07C: 923D3D3C
	s_add_u32 s82, s82, s61                                    // 00000000D080: 80523D52
	v_mul_lo_u32 v6, v5, s82                                   // 00000000D084: D2850006 0000A505
	v_readlane_b32 s82, v3, 21                                 // 00000000D08C: D2890052 00012B03
	s_lshr_b32 s61, s82, 24                                    // 00000000D094: 8F3D9852
	s_and_b32 s82, s82, 0xffffff                               // 00000000D098: 8652FF52 00FFFFFF
	s_mul_i32 s82, s82, s71                                    // 00000000D0A0: 92524752
	s_mul_i32 s61, s60, s61                                    // 00000000D0A4: 923D3D3C
	s_add_u32 s82, s82, s61                                    // 00000000D0A8: 80523D52
	v_mul_lo_u32 v7, v4, s82                                   // 00000000D0AC: D2850007 0000A504
	v_add_u32_e32 v70, v6, v7                                  // 00000000D0B4: 688C0F06
	v_readlane_b32 s82, v3, 22                                 // 00000000D0B8: D2890052 00012D03
	s_lshr_b32 s61, s82, 24                                    // 00000000D0C0: 8F3D9852
	s_and_b32 s82, s82, 0xffffff                               // 00000000D0C4: 8652FF52 00FFFFFF
	s_mul_i32 s82, s82, s71                                    // 00000000D0CC: 92524752
	s_mul_i32 s61, s60, s61                                    // 00000000D0D0: 923D3D3C
	s_add_u32 s82, s82, s61                                    // 00000000D0D4: 80523D52
	v_mul_lo_u32 v6, v5, s82                                   // 00000000D0D8: D2850006 0000A505
	v_readlane_b32 s82, v3, 23                                 // 00000000D0E0: D2890052 00012F03
	s_lshr_b32 s61, s82, 24                                    // 00000000D0E8: 8F3D9852
	s_and_b32 s82, s82, 0xffffff                               // 00000000D0EC: 8652FF52 00FFFFFF
	s_mul_i32 s82, s82, s71                                    // 00000000D0F4: 92524752
	s_mul_i32 s61, s60, s61                                    // 00000000D0F8: 923D3D3C
	s_add_u32 s82, s82, s61                                    // 00000000D0FC: 80523D52
	v_mul_lo_u32 v7, v4, s82                                   // 00000000D100: D2850007 0000A504
	v_add_u32_e32 v71, v6, v7                                  // 00000000D108: 688E0F06
	v_readlane_b32 s82, v3, 24                                 // 00000000D10C: D2890052 00013103
	s_lshr_b32 s61, s82, 24                                    // 00000000D114: 8F3D9852
	s_and_b32 s82, s82, 0xffffff                               // 00000000D118: 8652FF52 00FFFFFF
	s_mul_i32 s82, s82, s71                                    // 00000000D120: 92524752
	s_mul_i32 s61, s60, s61                                    // 00000000D124: 923D3D3C
	s_add_u32 s82, s82, s61                                    // 00000000D128: 80523D52
	v_mul_lo_u32 v6, v5, s82                                   // 00000000D12C: D2850006 0000A505
	v_readlane_b32 s82, v3, 25                                 // 00000000D134: D2890052 00013303
	s_lshr_b32 s61, s82, 24                                    // 00000000D13C: 8F3D9852
	s_and_b32 s82, s82, 0xffffff                               // 00000000D140: 8652FF52 00FFFFFF
	s_mul_i32 s82, s82, s71                                    // 00000000D148: 92524752
	s_mul_i32 s61, s60, s61                                    // 00000000D14C: 923D3D3C
	s_add_u32 s82, s82, s61                                    // 00000000D150: 80523D52
	v_mul_lo_u32 v7, v4, s82                                   // 00000000D154: D2850007 0000A504
	v_add_u32_e32 v72, v6, v7                                  // 00000000D15C: 68900F06
	v_readlane_b32 s82, v3, 26                                 // 00000000D160: D2890052 00013503
	s_lshr_b32 s61, s82, 24                                    // 00000000D168: 8F3D9852
	s_and_b32 s82, s82, 0xffffff                               // 00000000D16C: 8652FF52 00FFFFFF
	s_mul_i32 s82, s82, s71                                    // 00000000D174: 92524752
	s_mul_i32 s61, s60, s61                                    // 00000000D178: 923D3D3C
	s_add_u32 s82, s82, s61                                    // 00000000D17C: 80523D52
	v_mul_lo_u32 v6, v5, s82                                   // 00000000D180: D2850006 0000A505
	v_readlane_b32 s82, v3, 27                                 // 00000000D188: D2890052 00013703
	s_lshr_b32 s61, s82, 24                                    // 00000000D190: 8F3D9852
	s_and_b32 s82, s82, 0xffffff                               // 00000000D194: 8652FF52 00FFFFFF
	s_mul_i32 s82, s82, s71                                    // 00000000D19C: 92524752
	s_mul_i32 s61, s60, s61                                    // 00000000D1A0: 923D3D3C
	s_add_u32 s82, s82, s61                                    // 00000000D1A4: 80523D52
	v_mul_lo_u32 v7, v4, s82                                   // 00000000D1A8: D2850007 0000A504
	v_add_u32_e32 v73, v6, v7                                  // 00000000D1B0: 68920F06
	v_readlane_b32 s82, v3, 28                                 // 00000000D1B4: D2890052 00013903
	s_lshr_b32 s61, s82, 24                                    // 00000000D1BC: 8F3D9852
	s_and_b32 s82, s82, 0xffffff                               // 00000000D1C0: 8652FF52 00FFFFFF
	s_mul_i32 s82, s82, s71                                    // 00000000D1C8: 92524752
	s_mul_i32 s61, s60, s61                                    // 00000000D1CC: 923D3D3C
	s_add_u32 s82, s82, s61                                    // 00000000D1D0: 80523D52
	v_mul_lo_u32 v6, v5, s82                                   // 00000000D1D4: D2850006 0000A505
	v_readlane_b32 s82, v3, 29                                 // 00000000D1DC: D2890052 00013B03
	s_lshr_b32 s61, s82, 24                                    // 00000000D1E4: 8F3D9852
	s_and_b32 s82, s82, 0xffffff                               // 00000000D1E8: 8652FF52 00FFFFFF
	s_mul_i32 s82, s82, s71                                    // 00000000D1F0: 92524752
	s_mul_i32 s61, s60, s61                                    // 00000000D1F4: 923D3D3C
	s_add_u32 s82, s82, s61                                    // 00000000D1F8: 80523D52
	v_mul_lo_u32 v7, v4, s82                                   // 00000000D1FC: D2850007 0000A504
	v_add_u32_e32 v74, v6, v7                                  // 00000000D204: 68940F06
	v_readlane_b32 s82, v3, 30                                 // 00000000D208: D2890052 00013D03
	s_lshr_b32 s61, s82, 24                                    // 00000000D210: 8F3D9852
	s_and_b32 s82, s82, 0xffffff                               // 00000000D214: 8652FF52 00FFFFFF
	s_mul_i32 s82, s82, s71                                    // 00000000D21C: 92524752
	s_mul_i32 s61, s60, s61                                    // 00000000D220: 923D3D3C
	s_add_u32 s82, s82, s61                                    // 00000000D224: 80523D52
	v_mul_lo_u32 v6, v5, s82                                   // 00000000D228: D2850006 0000A505
	v_readlane_b32 s82, v3, 31                                 // 00000000D230: D2890052 00013F03
	s_lshr_b32 s61, s82, 24                                    // 00000000D238: 8F3D9852
	s_and_b32 s82, s82, 0xffffff                               // 00000000D23C: 8652FF52 00FFFFFF
	s_mul_i32 s82, s82, s71                                    // 00000000D244: 92524752
	s_mul_i32 s61, s60, s61                                    // 00000000D248: 923D3D3C
	s_add_u32 s82, s82, s61                                    // 00000000D24C: 80523D52
	v_mul_lo_u32 v7, v4, s82                                   // 00000000D250: D2850007 0000A504
	v_add_u32_e32 v75, v6, v7                                  // 00000000D258: 68960F06
	v_and_b32_e32 v4, 31, v0                                   // 00000000D25C: 2608009F
	v_lshrrev_b32_e32 v4, 1, v4                                // 00000000D260: 20080881
	s_cmp_eq_u32 s88, 0                                        // 00000000D264: BF068058
	s_cselect_b32 s61, 2, 4                                    // 00000000D268: 853D8482
	v_mul_lo_u32 v4, v4, s61                                   // 00000000D26C: D2850004 00007B04
	v_and_b32_e64 v5, v0, 1                                    // 00000000D274: D1130005 00010300
	v_add_u32_e32 v4, v4, v5                                   // 00000000D27C: 68080B04
	v_lshlrev_b32_e32 v4, 2, v4                                // 00000000D280: 24080882
	v_add_u32_e32 v60, v60, v4                                 // 00000000D284: 6878093C
	v_add_u32_e32 v61, v61, v4                                 // 00000000D288: 687A093D
	v_add_u32_e32 v62, v62, v4                                 // 00000000D28C: 687C093E
	v_add_u32_e32 v63, v63, v4                                 // 00000000D290: 687E093F
	v_add_u32_e32 v64, v64, v4                                 // 00000000D294: 68800940
	v_add_u32_e32 v65, v65, v4                                 // 00000000D298: 68820941
	v_add_u32_e32 v66, v66, v4                                 // 00000000D29C: 68840942
	v_add_u32_e32 v67, v67, v4                                 // 00000000D2A0: 68860943
	v_add_u32_e32 v68, v68, v4                                 // 00000000D2A4: 68880944
	v_add_u32_e32 v69, v69, v4                                 // 00000000D2A8: 688A0945
	v_add_u32_e32 v70, v70, v4                                 // 00000000D2AC: 688C0946
	v_add_u32_e32 v71, v71, v4                                 // 00000000D2B0: 688E0947
	v_add_u32_e32 v72, v72, v4                                 // 00000000D2B4: 68900948
	v_add_u32_e32 v73, v73, v4                                 // 00000000D2B8: 68920949
	v_add_u32_e32 v74, v74, v4                                 // 00000000D2BC: 6894094A
	v_add_u32_e32 v75, v75, v4                                 // 00000000D2C0: 6896094B
	s_waitcnt lgkmcnt(0)                                       // 00000000D2C4: BF8CC07F
	s_barrier                                                  // 00000000D2C8: BF8A0000
	ds_read_b32 v80, v21                                       // 00000000D2CC: D86C0000 50000015
	ds_read_b32 v81, v21 offset:64                             // 00000000D2D4: D86C0040 51000015
	ds_read_b32 v84, v21 offset:2176                           // 00000000D2DC: D86C0880 54000015
	ds_read_b32 v85, v21 offset:2240                           // 00000000D2E4: D86C08C0 55000015
	ds_read_b32 v88, v21 offset:4352                           // 00000000D2EC: D86C1100 58000015
	ds_read_b32 v89, v21 offset:4416                           // 00000000D2F4: D86C1140 59000015
	ds_read_b32 v92, v21 offset:6528                           // 00000000D2FC: D86C1980 5C000015
	ds_read_b32 v93, v21 offset:6592                           // 00000000D304: D86C19C0 5D000015
	ds_read_b32 v96, v21 offset:8704                           // 00000000D30C: D86C2200 60000015
	ds_read_b32 v97, v21 offset:8768                           // 00000000D314: D86C2240 61000015
	ds_read_b32 v100, v21 offset:10880                         // 00000000D31C: D86C2A80 64000015
	ds_read_b32 v101, v21 offset:10944                         // 00000000D324: D86C2AC0 65000015
	ds_read_b32 v104, v21 offset:13056                         // 00000000D32C: D86C3300 68000015
	ds_read_b32 v105, v21 offset:13120                         // 00000000D334: D86C3340 69000015
	ds_read_b32 v108, v21 offset:15232                         // 00000000D33C: D86C3B80 6C000015
	ds_read_b32 v109, v21 offset:15296                         // 00000000D344: D86C3BC0 6D000015
	ds_read_b32 v112, v21 offset:17408                         // 00000000D34C: D86C4400 70000015
	ds_read_b32 v113, v21 offset:17472                         // 00000000D354: D86C4440 71000015
	ds_read_b32 v116, v21 offset:19584                         // 00000000D35C: D86C4C80 74000015
	ds_read_b32 v117, v21 offset:19648                         // 00000000D364: D86C4CC0 75000015
	ds_read_b32 v120, v21 offset:21760                         // 00000000D36C: D86C5500 78000015
	ds_read_b32 v121, v21 offset:21824                         // 00000000D374: D86C5540 79000015
	ds_read_b32 v124, v21 offset:23936                         // 00000000D37C: D86C5D80 7C000015
	ds_read_b32 v125, v21 offset:24000                         // 00000000D384: D86C5DC0 7D000015
	ds_read_b32 v128, v21 offset:26112                         // 00000000D38C: D86C6600 80000015
	ds_read_b32 v129, v21 offset:26176                         // 00000000D394: D86C6640 81000015
	ds_read_b32 v132, v21 offset:28288                         // 00000000D39C: D86C6E80 84000015
	ds_read_b32 v133, v21 offset:28352                         // 00000000D3A4: D86C6EC0 85000015
	ds_read_b32 v136, v21 offset:30464                         // 00000000D3AC: D86C7700 88000015
	ds_read_b32 v137, v21 offset:30528                         // 00000000D3B4: D86C7740 89000015
	ds_read_b32 v140, v21 offset:32640                         // 00000000D3BC: D86C7F80 8C000015
	ds_read_b32 v141, v21 offset:32704                         // 00000000D3C4: D86C7FC0 8D000015
	s_waitcnt lgkmcnt(0)                                       // 00000000D3CC: BF8CC07F
	s_mov_b32 s36, -1                                          // 00000000D3D0: BEA400C1
	s_mov_b32 s37, -1                                          // 00000000D3D4: BEA500C1
	v_mov_b32_e32 v7, 0                                        // 00000000D3D8: 7E0E0280
	s_mov_b64 exec, s[36:37]                                   // 00000000D3DC: BEFE0124
	v_mov_b32_e32 v6, v60                                      // 00000000D3E0: 7E0C033C
	s_mov_b64 s[60:61], 0                                      // 00000000D3E4: BEBC0180
	v_readlane_b32 s82, v3, 0                                  // 00000000D3E8: D2890052 00010103
	s_and_b32 s82, s82, 0xffffff                               // 00000000D3F0: 8652FF52 00FFFFFF
	s_cmp_lt_u32 s82, s66                                      // 00000000D3F8: BF0A4252
	s_cselect_b32 s20, s36, s60                                // 00000000D3FC: 85143C24
	v_readlane_b32 s82, v3, 1                                  // 00000000D400: D2890052 00010303
	s_and_b32 s82, s82, 0xffffff                               // 00000000D408: 8652FF52 00FFFFFF
	s_cmp_lt_u32 s82, s66                                      // 00000000D410: BF0A4252
	s_cselect_b32 s21, s36, s60                                // 00000000D414: 85153C24
	s_mov_b64 exec, s[20:21]                                   // 00000000D418: BEFE0114
	global_atomic_add_f32 v6, v80, s[8:9]                      // 00000000D41C: DD348000 00085006
	global_atomic_add_f32 v6, v84, s[8:9] offset:256           // 00000000D424: DD348100 00085406
	s_mov_b64 exec, s[36:37]                                   // 00000000D42C: BEFE0124
	v_mov_b32_e32 v6, v61                                      // 00000000D430: 7E0C033D
	s_mov_b64 s[60:61], 0                                      // 00000000D434: BEBC0180
	v_readlane_b32 s82, v3, 2                                  // 00000000D438: D2890052 00010503
	s_and_b32 s82, s82, 0xffffff                               // 00000000D440: 8652FF52 00FFFFFF
	s_cmp_lt_u32 s82, s66                                      // 00000000D448: BF0A4252
	s_cselect_b32 s20, s36, s60                                // 00000000D44C: 85143C24
	v_readlane_b32 s82, v3, 3                                  // 00000000D450: D2890052 00010703
	s_and_b32 s82, s82, 0xffffff                               // 00000000D458: 8652FF52 00FFFFFF
	s_cmp_lt_u32 s82, s66                                      // 00000000D460: BF0A4252
	s_cselect_b32 s21, s36, s60                                // 00000000D464: 85153C24
	s_mov_b64 exec, s[20:21]                                   // 00000000D468: BEFE0114
	global_atomic_add_f32 v6, v81, s[8:9]                      // 00000000D46C: DD348000 00085106
	global_atomic_add_f32 v6, v85, s[8:9] offset:256           // 00000000D474: DD348100 00085506
	s_mov_b64 exec, s[36:37]                                   // 00000000D47C: BEFE0124
	v_mov_b32_e32 v6, v62                                      // 00000000D480: 7E0C033E
	s_mov_b64 s[60:61], 0                                      // 00000000D484: BEBC0180
	v_readlane_b32 s82, v3, 4                                  // 00000000D488: D2890052 00010903
	s_and_b32 s82, s82, 0xffffff                               // 00000000D490: 8652FF52 00FFFFFF
	s_cmp_lt_u32 s82, s66                                      // 00000000D498: BF0A4252
	s_cselect_b32 s20, s36, s60                                // 00000000D49C: 85143C24
	v_readlane_b32 s82, v3, 5                                  // 00000000D4A0: D2890052 00010B03
	s_and_b32 s82, s82, 0xffffff                               // 00000000D4A8: 8652FF52 00FFFFFF
	s_cmp_lt_u32 s82, s66                                      // 00000000D4B0: BF0A4252
	s_cselect_b32 s21, s36, s60                                // 00000000D4B4: 85153C24
	s_mov_b64 exec, s[20:21]                                   // 00000000D4B8: BEFE0114
	global_atomic_add_f32 v6, v88, s[8:9]                      // 00000000D4BC: DD348000 00085806
	global_atomic_add_f32 v6, v92, s[8:9] offset:256           // 00000000D4C4: DD348100 00085C06
	s_mov_b64 exec, s[36:37]                                   // 00000000D4CC: BEFE0124
	v_mov_b32_e32 v6, v63                                      // 00000000D4D0: 7E0C033F
	s_mov_b64 s[60:61], 0                                      // 00000000D4D4: BEBC0180
	v_readlane_b32 s82, v3, 6                                  // 00000000D4D8: D2890052 00010D03
	s_and_b32 s82, s82, 0xffffff                               // 00000000D4E0: 8652FF52 00FFFFFF
	s_cmp_lt_u32 s82, s66                                      // 00000000D4E8: BF0A4252
	s_cselect_b32 s20, s36, s60                                // 00000000D4EC: 85143C24
	v_readlane_b32 s82, v3, 7                                  // 00000000D4F0: D2890052 00010F03
	s_and_b32 s82, s82, 0xffffff                               // 00000000D4F8: 8652FF52 00FFFFFF
	s_cmp_lt_u32 s82, s66                                      // 00000000D500: BF0A4252
	s_cselect_b32 s21, s36, s60                                // 00000000D504: 85153C24
	s_mov_b64 exec, s[20:21]                                   // 00000000D508: BEFE0114
	global_atomic_add_f32 v6, v89, s[8:9]                      // 00000000D50C: DD348000 00085906
	global_atomic_add_f32 v6, v93, s[8:9] offset:256           // 00000000D514: DD348100 00085D06
	s_mov_b64 exec, s[36:37]                                   // 00000000D51C: BEFE0124
	v_mov_b32_e32 v6, v64                                      // 00000000D520: 7E0C0340
	s_mov_b64 s[60:61], 0                                      // 00000000D524: BEBC0180
	v_readlane_b32 s82, v3, 8                                  // 00000000D528: D2890052 00011103
	s_and_b32 s82, s82, 0xffffff                               // 00000000D530: 8652FF52 00FFFFFF
	s_cmp_lt_u32 s82, s66                                      // 00000000D538: BF0A4252
	s_cselect_b32 s20, s36, s60                                // 00000000D53C: 85143C24
	v_readlane_b32 s82, v3, 9                                  // 00000000D540: D2890052 00011303
	s_and_b32 s82, s82, 0xffffff                               // 00000000D548: 8652FF52 00FFFFFF
	s_cmp_lt_u32 s82, s66                                      // 00000000D550: BF0A4252
	s_cselect_b32 s21, s36, s60                                // 00000000D554: 85153C24
	s_mov_b64 exec, s[20:21]                                   // 00000000D558: BEFE0114
	global_atomic_add_f32 v6, v96, s[8:9]                      // 00000000D55C: DD348000 00086006
	global_atomic_add_f32 v6, v100, s[8:9] offset:256          // 00000000D564: DD348100 00086406
	s_mov_b64 exec, s[36:37]                                   // 00000000D56C: BEFE0124
	v_mov_b32_e32 v6, v65                                      // 00000000D570: 7E0C0341
	s_mov_b64 s[60:61], 0                                      // 00000000D574: BEBC0180
	v_readlane_b32 s82, v3, 10                                 // 00000000D578: D2890052 00011503
	s_and_b32 s82, s82, 0xffffff                               // 00000000D580: 8652FF52 00FFFFFF
	s_cmp_lt_u32 s82, s66                                      // 00000000D588: BF0A4252
	s_cselect_b32 s20, s36, s60                                // 00000000D58C: 85143C24
	v_readlane_b32 s82, v3, 11                                 // 00000000D590: D2890052 00011703
	s_and_b32 s82, s82, 0xffffff                               // 00000000D598: 8652FF52 00FFFFFF
	s_cmp_lt_u32 s82, s66                                      // 00000000D5A0: BF0A4252
	s_cselect_b32 s21, s36, s60                                // 00000000D5A4: 85153C24
	s_mov_b64 exec, s[20:21]                                   // 00000000D5A8: BEFE0114
	global_atomic_add_f32 v6, v97, s[8:9]                      // 00000000D5AC: DD348000 00086106
	global_atomic_add_f32 v6, v101, s[8:9] offset:256          // 00000000D5B4: DD348100 00086506
	s_mov_b64 exec, s[36:37]                                   // 00000000D5BC: BEFE0124
	v_mov_b32_e32 v6, v66                                      // 00000000D5C0: 7E0C0342
	s_mov_b64 s[60:61], 0                                      // 00000000D5C4: BEBC0180
	v_readlane_b32 s82, v3, 12                                 // 00000000D5C8: D2890052 00011903
	s_and_b32 s82, s82, 0xffffff                               // 00000000D5D0: 8652FF52 00FFFFFF
	s_cmp_lt_u32 s82, s66                                      // 00000000D5D8: BF0A4252
	s_cselect_b32 s20, s36, s60                                // 00000000D5DC: 85143C24
	v_readlane_b32 s82, v3, 13                                 // 00000000D5E0: D2890052 00011B03
	s_and_b32 s82, s82, 0xffffff                               // 00000000D5E8: 8652FF52 00FFFFFF
	s_cmp_lt_u32 s82, s66                                      // 00000000D5F0: BF0A4252
	s_cselect_b32 s21, s36, s60                                // 00000000D5F4: 85153C24
	s_mov_b64 exec, s[20:21]                                   // 00000000D5F8: BEFE0114
	global_atomic_add_f32 v6, v104, s[8:9]                     // 00000000D5FC: DD348000 00086806
	global_atomic_add_f32 v6, v108, s[8:9] offset:256          // 00000000D604: DD348100 00086C06
	s_mov_b64 exec, s[36:37]                                   // 00000000D60C: BEFE0124
	v_mov_b32_e32 v6, v67                                      // 00000000D610: 7E0C0343
	s_mov_b64 s[60:61], 0                                      // 00000000D614: BEBC0180
	v_readlane_b32 s82, v3, 14                                 // 00000000D618: D2890052 00011D03
	s_and_b32 s82, s82, 0xffffff                               // 00000000D620: 8652FF52 00FFFFFF
	s_cmp_lt_u32 s82, s66                                      // 00000000D628: BF0A4252
	s_cselect_b32 s20, s36, s60                                // 00000000D62C: 85143C24
	v_readlane_b32 s82, v3, 15                                 // 00000000D630: D2890052 00011F03
	s_and_b32 s82, s82, 0xffffff                               // 00000000D638: 8652FF52 00FFFFFF
	s_cmp_lt_u32 s82, s66                                      // 00000000D640: BF0A4252
	s_cselect_b32 s21, s36, s60                                // 00000000D644: 85153C24
	s_mov_b64 exec, s[20:21]                                   // 00000000D648: BEFE0114
	global_atomic_add_f32 v6, v105, s[8:9]                     // 00000000D64C: DD348000 00086906
	global_atomic_add_f32 v6, v109, s[8:9] offset:256          // 00000000D654: DD348100 00086D06
	s_mov_b64 exec, s[36:37]                                   // 00000000D65C: BEFE0124
	v_mov_b32_e32 v6, v68                                      // 00000000D660: 7E0C0344
	s_mov_b64 s[60:61], 0                                      // 00000000D664: BEBC0180
	v_readlane_b32 s82, v3, 16                                 // 00000000D668: D2890052 00012103
	s_and_b32 s82, s82, 0xffffff                               // 00000000D670: 8652FF52 00FFFFFF
	s_cmp_lt_u32 s82, s66                                      // 00000000D678: BF0A4252
	s_cselect_b32 s20, s36, s60                                // 00000000D67C: 85143C24
	v_readlane_b32 s82, v3, 17                                 // 00000000D680: D2890052 00012303
	s_and_b32 s82, s82, 0xffffff                               // 00000000D688: 8652FF52 00FFFFFF
	s_cmp_lt_u32 s82, s66                                      // 00000000D690: BF0A4252
	s_cselect_b32 s21, s36, s60                                // 00000000D694: 85153C24
	s_mov_b64 exec, s[20:21]                                   // 00000000D698: BEFE0114
	global_atomic_add_f32 v6, v112, s[8:9]                     // 00000000D69C: DD348000 00087006
	global_atomic_add_f32 v6, v116, s[8:9] offset:256          // 00000000D6A4: DD348100 00087406
	s_mov_b64 exec, s[36:37]                                   // 00000000D6AC: BEFE0124
	v_mov_b32_e32 v6, v69                                      // 00000000D6B0: 7E0C0345
	s_mov_b64 s[60:61], 0                                      // 00000000D6B4: BEBC0180
	v_readlane_b32 s82, v3, 18                                 // 00000000D6B8: D2890052 00012503
	s_and_b32 s82, s82, 0xffffff                               // 00000000D6C0: 8652FF52 00FFFFFF
	s_cmp_lt_u32 s82, s66                                      // 00000000D6C8: BF0A4252
	s_cselect_b32 s20, s36, s60                                // 00000000D6CC: 85143C24
	v_readlane_b32 s82, v3, 19                                 // 00000000D6D0: D2890052 00012703
	s_and_b32 s82, s82, 0xffffff                               // 00000000D6D8: 8652FF52 00FFFFFF
	s_cmp_lt_u32 s82, s66                                      // 00000000D6E0: BF0A4252
	s_cselect_b32 s21, s36, s60                                // 00000000D6E4: 85153C24
	s_mov_b64 exec, s[20:21]                                   // 00000000D6E8: BEFE0114
	global_atomic_add_f32 v6, v113, s[8:9]                     // 00000000D6EC: DD348000 00087106
	global_atomic_add_f32 v6, v117, s[8:9] offset:256          // 00000000D6F4: DD348100 00087506
	s_mov_b64 exec, s[36:37]                                   // 00000000D6FC: BEFE0124
	v_mov_b32_e32 v6, v70                                      // 00000000D700: 7E0C0346
	s_mov_b64 s[60:61], 0                                      // 00000000D704: BEBC0180
	v_readlane_b32 s82, v3, 20                                 // 00000000D708: D2890052 00012903
	s_and_b32 s82, s82, 0xffffff                               // 00000000D710: 8652FF52 00FFFFFF
	s_cmp_lt_u32 s82, s66                                      // 00000000D718: BF0A4252
	s_cselect_b32 s20, s36, s60                                // 00000000D71C: 85143C24
	v_readlane_b32 s82, v3, 21                                 // 00000000D720: D2890052 00012B03
	s_and_b32 s82, s82, 0xffffff                               // 00000000D728: 8652FF52 00FFFFFF
	s_cmp_lt_u32 s82, s66                                      // 00000000D730: BF0A4252
	s_cselect_b32 s21, s36, s60                                // 00000000D734: 85153C24
	s_mov_b64 exec, s[20:21]                                   // 00000000D738: BEFE0114
	global_atomic_add_f32 v6, v120, s[8:9]                     // 00000000D73C: DD348000 00087806
	global_atomic_add_f32 v6, v124, s[8:9] offset:256          // 00000000D744: DD348100 00087C06
	s_mov_b64 exec, s[36:37]                                   // 00000000D74C: BEFE0124
	v_mov_b32_e32 v6, v71                                      // 00000000D750: 7E0C0347
	s_mov_b64 s[60:61], 0                                      // 00000000D754: BEBC0180
	v_readlane_b32 s82, v3, 22                                 // 00000000D758: D2890052 00012D03
	s_and_b32 s82, s82, 0xffffff                               // 00000000D760: 8652FF52 00FFFFFF
	s_cmp_lt_u32 s82, s66                                      // 00000000D768: BF0A4252
	s_cselect_b32 s20, s36, s60                                // 00000000D76C: 85143C24
	v_readlane_b32 s82, v3, 23                                 // 00000000D770: D2890052 00012F03
	s_and_b32 s82, s82, 0xffffff                               // 00000000D778: 8652FF52 00FFFFFF
	s_cmp_lt_u32 s82, s66                                      // 00000000D780: BF0A4252
	s_cselect_b32 s21, s36, s60                                // 00000000D784: 85153C24
	s_mov_b64 exec, s[20:21]                                   // 00000000D788: BEFE0114
	global_atomic_add_f32 v6, v121, s[8:9]                     // 00000000D78C: DD348000 00087906
	global_atomic_add_f32 v6, v125, s[8:9] offset:256          // 00000000D794: DD348100 00087D06
	s_mov_b64 exec, s[36:37]                                   // 00000000D79C: BEFE0124
	v_mov_b32_e32 v6, v72                                      // 00000000D7A0: 7E0C0348
	s_mov_b64 s[60:61], 0                                      // 00000000D7A4: BEBC0180
	v_readlane_b32 s82, v3, 24                                 // 00000000D7A8: D2890052 00013103
	s_and_b32 s82, s82, 0xffffff                               // 00000000D7B0: 8652FF52 00FFFFFF
	s_cmp_lt_u32 s82, s66                                      // 00000000D7B8: BF0A4252
	s_cselect_b32 s20, s36, s60                                // 00000000D7BC: 85143C24
	v_readlane_b32 s82, v3, 25                                 // 00000000D7C0: D2890052 00013303
	s_and_b32 s82, s82, 0xffffff                               // 00000000D7C8: 8652FF52 00FFFFFF
	s_cmp_lt_u32 s82, s66                                      // 00000000D7D0: BF0A4252
	s_cselect_b32 s21, s36, s60                                // 00000000D7D4: 85153C24
	s_mov_b64 exec, s[20:21]                                   // 00000000D7D8: BEFE0114
	global_atomic_add_f32 v6, v128, s[8:9]                     // 00000000D7DC: DD348000 00088006
	global_atomic_add_f32 v6, v132, s[8:9] offset:256          // 00000000D7E4: DD348100 00088406
	s_mov_b64 exec, s[36:37]                                   // 00000000D7EC: BEFE0124
	v_mov_b32_e32 v6, v73                                      // 00000000D7F0: 7E0C0349
	s_mov_b64 s[60:61], 0                                      // 00000000D7F4: BEBC0180
	v_readlane_b32 s82, v3, 26                                 // 00000000D7F8: D2890052 00013503
	s_and_b32 s82, s82, 0xffffff                               // 00000000D800: 8652FF52 00FFFFFF
	s_cmp_lt_u32 s82, s66                                      // 00000000D808: BF0A4252
	s_cselect_b32 s20, s36, s60                                // 00000000D80C: 85143C24
	v_readlane_b32 s82, v3, 27                                 // 00000000D810: D2890052 00013703
	s_and_b32 s82, s82, 0xffffff                               // 00000000D818: 8652FF52 00FFFFFF
	s_cmp_lt_u32 s82, s66                                      // 00000000D820: BF0A4252
	s_cselect_b32 s21, s36, s60                                // 00000000D824: 85153C24
	s_mov_b64 exec, s[20:21]                                   // 00000000D828: BEFE0114
	global_atomic_add_f32 v6, v129, s[8:9]                     // 00000000D82C: DD348000 00088106
	global_atomic_add_f32 v6, v133, s[8:9] offset:256          // 00000000D834: DD348100 00088506
	s_mov_b64 exec, s[36:37]                                   // 00000000D83C: BEFE0124
	v_mov_b32_e32 v6, v74                                      // 00000000D840: 7E0C034A
	s_mov_b64 s[60:61], 0                                      // 00000000D844: BEBC0180
	v_readlane_b32 s82, v3, 28                                 // 00000000D848: D2890052 00013903
	s_and_b32 s82, s82, 0xffffff                               // 00000000D850: 8652FF52 00FFFFFF
	s_cmp_lt_u32 s82, s66                                      // 00000000D858: BF0A4252
	s_cselect_b32 s20, s36, s60                                // 00000000D85C: 85143C24
	v_readlane_b32 s82, v3, 29                                 // 00000000D860: D2890052 00013B03
	s_and_b32 s82, s82, 0xffffff                               // 00000000D868: 8652FF52 00FFFFFF
	s_cmp_lt_u32 s82, s66                                      // 00000000D870: BF0A4252
	s_cselect_b32 s21, s36, s60                                // 00000000D874: 85153C24
	s_mov_b64 exec, s[20:21]                                   // 00000000D878: BEFE0114
	global_atomic_add_f32 v6, v136, s[8:9]                     // 00000000D87C: DD348000 00088806
	global_atomic_add_f32 v6, v140, s[8:9] offset:256          // 00000000D884: DD348100 00088C06
	s_mov_b64 exec, s[36:37]                                   // 00000000D88C: BEFE0124
	v_mov_b32_e32 v6, v75                                      // 00000000D890: 7E0C034B
	s_mov_b64 s[60:61], 0                                      // 00000000D894: BEBC0180
	v_readlane_b32 s82, v3, 30                                 // 00000000D898: D2890052 00013D03
	s_and_b32 s82, s82, 0xffffff                               // 00000000D8A0: 8652FF52 00FFFFFF
	s_cmp_lt_u32 s82, s66                                      // 00000000D8A8: BF0A4252
	s_cselect_b32 s20, s36, s60                                // 00000000D8AC: 85143C24
	v_readlane_b32 s82, v3, 31                                 // 00000000D8B0: D2890052 00013F03
	s_and_b32 s82, s82, 0xffffff                               // 00000000D8B8: 8652FF52 00FFFFFF
	s_cmp_lt_u32 s82, s66                                      // 00000000D8C0: BF0A4252
	s_cselect_b32 s21, s36, s60                                // 00000000D8C4: 85153C24
	s_mov_b64 exec, s[20:21]                                   // 00000000D8C8: BEFE0114
	global_atomic_add_f32 v6, v137, s[8:9]                     // 00000000D8CC: DD348000 00088906
	global_atomic_add_f32 v6, v141, s[8:9] offset:256          // 00000000D8D4: DD348100 00088D06
	s_mov_b64 exec, s[36:37]                                   // 00000000D8DC: BEFE0124
	ds_write_b64 v20, v[82:83]                                 // 00000000D8E0: D89A0000 00005214
	ds_write_b64 v20, v[86:87] offset:4352                     // 00000000D8E8: D89A1100 00005614
	ds_write_b64 v20, v[90:91] offset:8704                     // 00000000D8F0: D89A2200 00005A14
	ds_write_b64 v20, v[94:95] offset:13056                    // 00000000D8F8: D89A3300 00005E14
	ds_write_b64 v20, v[98:99] offset:17408                    // 00000000D900: D89A4400 00006214
	ds_write_b64 v20, v[102:103] offset:21760                  // 00000000D908: D89A5500 00006614
	ds_write_b64 v20, v[106:107] offset:26112                  // 00000000D910: D89A6600 00006A14
	ds_write_b64 v20, v[110:111] offset:30464                  // 00000000D918: D89A7700 00006E14
	ds_write_b64 v20, v[114:115] offset:2176                   // 00000000D920: D89A0880 00007214
	ds_write_b64 v20, v[118:119] offset:6528                   // 00000000D928: D89A1980 00007614
	ds_write_b64 v20, v[122:123] offset:10880                  // 00000000D930: D89A2A80 00007A14
	ds_write_b64 v20, v[126:127] offset:15232                  // 00000000D938: D89A3B80 00007E14
	ds_write_b64 v20, v[130:131] offset:19584                  // 00000000D940: D89A4C80 00008214
	ds_write_b64 v20, v[134:135] offset:23936                  // 00000000D948: D89A5D80 00008614
	ds_write_b64 v20, v[138:139] offset:28288                  // 00000000D950: D89A6E80 00008A14
	ds_write_b64 v20, v[142:143] offset:32640                  // 00000000D958: D89A7F80 00008E14
	s_waitcnt lgkmcnt(0)                                       // 00000000D960: BF8CC07F
	s_barrier                                                  // 00000000D964: BF8A0000
	ds_read_b32 v82, v21                                       // 00000000D968: D86C0000 52000015
	ds_read_b32 v83, v21 offset:64                             // 00000000D970: D86C0040 53000015
	ds_read_b32 v86, v21 offset:2176                           // 00000000D978: D86C0880 56000015
	ds_read_b32 v87, v21 offset:2240                           // 00000000D980: D86C08C0 57000015
	ds_read_b32 v90, v21 offset:4352                           // 00000000D988: D86C1100 5A000015
	ds_read_b32 v91, v21 offset:4416                           // 00000000D990: D86C1140 5B000015
	ds_read_b32 v94, v21 offset:6528                           // 00000000D998: D86C1980 5E000015
	ds_read_b32 v95, v21 offset:6592                           // 00000000D9A0: D86C19C0 5F000015
	ds_read_b32 v98, v21 offset:8704                           // 00000000D9A8: D86C2200 62000015
	ds_read_b32 v99, v21 offset:8768                           // 00000000D9B0: D86C2240 63000015
	ds_read_b32 v102, v21 offset:10880                         // 00000000D9B8: D86C2A80 66000015
	ds_read_b32 v103, v21 offset:10944                         // 00000000D9C0: D86C2AC0 67000015
	ds_read_b32 v106, v21 offset:13056                         // 00000000D9C8: D86C3300 6A000015
	ds_read_b32 v107, v21 offset:13120                         // 00000000D9D0: D86C3340 6B000015
	ds_read_b32 v110, v21 offset:15232                         // 00000000D9D8: D86C3B80 6E000015
	ds_read_b32 v111, v21 offset:15296                         // 00000000D9E0: D86C3BC0 6F000015
	ds_read_b32 v114, v21 offset:17408                         // 00000000D9E8: D86C4400 72000015
	ds_read_b32 v115, v21 offset:17472                         // 00000000D9F0: D86C4440 73000015
	ds_read_b32 v118, v21 offset:19584                         // 00000000D9F8: D86C4C80 76000015
	ds_read_b32 v119, v21 offset:19648                         // 00000000DA00: D86C4CC0 77000015
	ds_read_b32 v122, v21 offset:21760                         // 00000000DA08: D86C5500 7A000015
	ds_read_b32 v123, v21 offset:21824                         // 00000000DA10: D86C5540 7B000015
	ds_read_b32 v126, v21 offset:23936                         // 00000000DA18: D86C5D80 7E000015
	ds_read_b32 v127, v21 offset:24000                         // 00000000DA20: D86C5DC0 7F000015
	ds_read_b32 v130, v21 offset:26112                         // 00000000DA28: D86C6600 82000015
	ds_read_b32 v131, v21 offset:26176                         // 00000000DA30: D86C6640 83000015
	ds_read_b32 v134, v21 offset:28288                         // 00000000DA38: D86C6E80 86000015
	ds_read_b32 v135, v21 offset:28352                         // 00000000DA40: D86C6EC0 87000015
	ds_read_b32 v138, v21 offset:30464                         // 00000000DA48: D86C7700 8A000015
	ds_read_b32 v139, v21 offset:30528                         // 00000000DA50: D86C7740 8B000015
	ds_read_b32 v142, v21 offset:32640                         // 00000000DA58: D86C7F80 8E000015
	ds_read_b32 v143, v21 offset:32704                         // 00000000DA60: D86C7FC0 8F000015
	s_waitcnt lgkmcnt(0)                                       // 00000000DA68: BF8CC07F
	v_mov_b32_e32 v7, 0                                        // 00000000DA6C: 7E0E0280
	s_mov_b64 exec, s[36:37]                                   // 00000000DA70: BEFE0124
	v_mov_b32_e32 v6, v60                                      // 00000000DA74: 7E0C033C
	s_mov_b64 s[60:61], 0                                      // 00000000DA78: BEBC0180
	v_readlane_b32 s82, v3, 0                                  // 00000000DA7C: D2890052 00010103
	s_and_b32 s82, s82, 0xffffff                               // 00000000DA84: 8652FF52 00FFFFFF
	s_cmp_lt_u32 s82, s66                                      // 00000000DA8C: BF0A4252
	s_cselect_b32 s20, s36, s60                                // 00000000DA90: 85143C24
	v_readlane_b32 s82, v3, 1                                  // 00000000DA94: D2890052 00010303
	s_and_b32 s82, s82, 0xffffff                               // 00000000DA9C: 8652FF52 00FFFFFF
	s_cmp_lt_u32 s82, s66                                      // 00000000DAA4: BF0A4252
	s_cselect_b32 s21, s36, s60                                // 00000000DAA8: 85153C24
	s_mov_b64 exec, s[20:21]                                   // 00000000DAAC: BEFE0114
	global_atomic_add_f32 v6, v82, s[8:9] offset:8             // 00000000DAB0: DD348008 00085206
	global_atomic_add_f32 v6, v86, s[8:9] offset:264           // 00000000DAB8: DD348108 00085606
	s_mov_b64 exec, s[36:37]                                   // 00000000DAC0: BEFE0124
	v_mov_b32_e32 v6, v61                                      // 00000000DAC4: 7E0C033D
	s_mov_b64 s[60:61], 0                                      // 00000000DAC8: BEBC0180
	v_readlane_b32 s82, v3, 2                                  // 00000000DACC: D2890052 00010503
	s_and_b32 s82, s82, 0xffffff                               // 00000000DAD4: 8652FF52 00FFFFFF
	s_cmp_lt_u32 s82, s66                                      // 00000000DADC: BF0A4252
	s_cselect_b32 s20, s36, s60                                // 00000000DAE0: 85143C24
	v_readlane_b32 s82, v3, 3                                  // 00000000DAE4: D2890052 00010703
	s_and_b32 s82, s82, 0xffffff                               // 00000000DAEC: 8652FF52 00FFFFFF
	s_cmp_lt_u32 s82, s66                                      // 00000000DAF4: BF0A4252
	s_cselect_b32 s21, s36, s60                                // 00000000DAF8: 85153C24
	s_mov_b64 exec, s[20:21]                                   // 00000000DAFC: BEFE0114
	global_atomic_add_f32 v6, v83, s[8:9] offset:8             // 00000000DB00: DD348008 00085306
	global_atomic_add_f32 v6, v87, s[8:9] offset:264           // 00000000DB08: DD348108 00085706
	s_mov_b64 exec, s[36:37]                                   // 00000000DB10: BEFE0124
	v_mov_b32_e32 v6, v62                                      // 00000000DB14: 7E0C033E
	s_mov_b64 s[60:61], 0                                      // 00000000DB18: BEBC0180
	v_readlane_b32 s82, v3, 4                                  // 00000000DB1C: D2890052 00010903
	s_and_b32 s82, s82, 0xffffff                               // 00000000DB24: 8652FF52 00FFFFFF
	s_cmp_lt_u32 s82, s66                                      // 00000000DB2C: BF0A4252
	s_cselect_b32 s20, s36, s60                                // 00000000DB30: 85143C24
	v_readlane_b32 s82, v3, 5                                  // 00000000DB34: D2890052 00010B03
	s_and_b32 s82, s82, 0xffffff                               // 00000000DB3C: 8652FF52 00FFFFFF
	s_cmp_lt_u32 s82, s66                                      // 00000000DB44: BF0A4252
	s_cselect_b32 s21, s36, s60                                // 00000000DB48: 85153C24
	s_mov_b64 exec, s[20:21]                                   // 00000000DB4C: BEFE0114
	global_atomic_add_f32 v6, v90, s[8:9] offset:8             // 00000000DB50: DD348008 00085A06
	global_atomic_add_f32 v6, v94, s[8:9] offset:264           // 00000000DB58: DD348108 00085E06
	s_mov_b64 exec, s[36:37]                                   // 00000000DB60: BEFE0124
	v_mov_b32_e32 v6, v63                                      // 00000000DB64: 7E0C033F
	s_mov_b64 s[60:61], 0                                      // 00000000DB68: BEBC0180
	v_readlane_b32 s82, v3, 6                                  // 00000000DB6C: D2890052 00010D03
	s_and_b32 s82, s82, 0xffffff                               // 00000000DB74: 8652FF52 00FFFFFF
	s_cmp_lt_u32 s82, s66                                      // 00000000DB7C: BF0A4252
	s_cselect_b32 s20, s36, s60                                // 00000000DB80: 85143C24
	v_readlane_b32 s82, v3, 7                                  // 00000000DB84: D2890052 00010F03
	s_and_b32 s82, s82, 0xffffff                               // 00000000DB8C: 8652FF52 00FFFFFF
	s_cmp_lt_u32 s82, s66                                      // 00000000DB94: BF0A4252
	s_cselect_b32 s21, s36, s60                                // 00000000DB98: 85153C24
	s_mov_b64 exec, s[20:21]                                   // 00000000DB9C: BEFE0114
	global_atomic_add_f32 v6, v91, s[8:9] offset:8             // 00000000DBA0: DD348008 00085B06
	global_atomic_add_f32 v6, v95, s[8:9] offset:264           // 00000000DBA8: DD348108 00085F06
	s_mov_b64 exec, s[36:37]                                   // 00000000DBB0: BEFE0124
	v_mov_b32_e32 v6, v64                                      // 00000000DBB4: 7E0C0340
	s_mov_b64 s[60:61], 0                                      // 00000000DBB8: BEBC0180
	v_readlane_b32 s82, v3, 8                                  // 00000000DBBC: D2890052 00011103
	s_and_b32 s82, s82, 0xffffff                               // 00000000DBC4: 8652FF52 00FFFFFF
	s_cmp_lt_u32 s82, s66                                      // 00000000DBCC: BF0A4252
	s_cselect_b32 s20, s36, s60                                // 00000000DBD0: 85143C24
	v_readlane_b32 s82, v3, 9                                  // 00000000DBD4: D2890052 00011303
	s_and_b32 s82, s82, 0xffffff                               // 00000000DBDC: 8652FF52 00FFFFFF
	s_cmp_lt_u32 s82, s66                                      // 00000000DBE4: BF0A4252
	s_cselect_b32 s21, s36, s60                                // 00000000DBE8: 85153C24
	s_mov_b64 exec, s[20:21]                                   // 00000000DBEC: BEFE0114
	global_atomic_add_f32 v6, v98, s[8:9] offset:8             // 00000000DBF0: DD348008 00086206
	global_atomic_add_f32 v6, v102, s[8:9] offset:264          // 00000000DBF8: DD348108 00086606
	s_mov_b64 exec, s[36:37]                                   // 00000000DC00: BEFE0124
	v_mov_b32_e32 v6, v65                                      // 00000000DC04: 7E0C0341
	s_mov_b64 s[60:61], 0                                      // 00000000DC08: BEBC0180
	v_readlane_b32 s82, v3, 10                                 // 00000000DC0C: D2890052 00011503
	s_and_b32 s82, s82, 0xffffff                               // 00000000DC14: 8652FF52 00FFFFFF
	s_cmp_lt_u32 s82, s66                                      // 00000000DC1C: BF0A4252
	s_cselect_b32 s20, s36, s60                                // 00000000DC20: 85143C24
	v_readlane_b32 s82, v3, 11                                 // 00000000DC24: D2890052 00011703
	s_and_b32 s82, s82, 0xffffff                               // 00000000DC2C: 8652FF52 00FFFFFF
	s_cmp_lt_u32 s82, s66                                      // 00000000DC34: BF0A4252
	s_cselect_b32 s21, s36, s60                                // 00000000DC38: 85153C24
	s_mov_b64 exec, s[20:21]                                   // 00000000DC3C: BEFE0114
	global_atomic_add_f32 v6, v99, s[8:9] offset:8             // 00000000DC40: DD348008 00086306
	global_atomic_add_f32 v6, v103, s[8:9] offset:264          // 00000000DC48: DD348108 00086706
	s_mov_b64 exec, s[36:37]                                   // 00000000DC50: BEFE0124
	v_mov_b32_e32 v6, v66                                      // 00000000DC54: 7E0C0342
	s_mov_b64 s[60:61], 0                                      // 00000000DC58: BEBC0180
	v_readlane_b32 s82, v3, 12                                 // 00000000DC5C: D2890052 00011903
	s_and_b32 s82, s82, 0xffffff                               // 00000000DC64: 8652FF52 00FFFFFF
	s_cmp_lt_u32 s82, s66                                      // 00000000DC6C: BF0A4252
	s_cselect_b32 s20, s36, s60                                // 00000000DC70: 85143C24
	v_readlane_b32 s82, v3, 13                                 // 00000000DC74: D2890052 00011B03
	s_and_b32 s82, s82, 0xffffff                               // 00000000DC7C: 8652FF52 00FFFFFF
	s_cmp_lt_u32 s82, s66                                      // 00000000DC84: BF0A4252
	s_cselect_b32 s21, s36, s60                                // 00000000DC88: 85153C24
	s_mov_b64 exec, s[20:21]                                   // 00000000DC8C: BEFE0114
	global_atomic_add_f32 v6, v106, s[8:9] offset:8            // 00000000DC90: DD348008 00086A06
	global_atomic_add_f32 v6, v110, s[8:9] offset:264          // 00000000DC98: DD348108 00086E06
	s_mov_b64 exec, s[36:37]                                   // 00000000DCA0: BEFE0124
	v_mov_b32_e32 v6, v67                                      // 00000000DCA4: 7E0C0343
	s_mov_b64 s[60:61], 0                                      // 00000000DCA8: BEBC0180
	v_readlane_b32 s82, v3, 14                                 // 00000000DCAC: D2890052 00011D03
	s_and_b32 s82, s82, 0xffffff                               // 00000000DCB4: 8652FF52 00FFFFFF
	s_cmp_lt_u32 s82, s66                                      // 00000000DCBC: BF0A4252
	s_cselect_b32 s20, s36, s60                                // 00000000DCC0: 85143C24
	v_readlane_b32 s82, v3, 15                                 // 00000000DCC4: D2890052 00011F03
	s_and_b32 s82, s82, 0xffffff                               // 00000000DCCC: 8652FF52 00FFFFFF
	s_cmp_lt_u32 s82, s66                                      // 00000000DCD4: BF0A4252
	s_cselect_b32 s21, s36, s60                                // 00000000DCD8: 85153C24
	s_mov_b64 exec, s[20:21]                                   // 00000000DCDC: BEFE0114
	global_atomic_add_f32 v6, v107, s[8:9] offset:8            // 00000000DCE0: DD348008 00086B06
	global_atomic_add_f32 v6, v111, s[8:9] offset:264          // 00000000DCE8: DD348108 00086F06
	s_mov_b64 exec, s[36:37]                                   // 00000000DCF0: BEFE0124
	v_mov_b32_e32 v6, v68                                      // 00000000DCF4: 7E0C0344
	s_mov_b64 s[60:61], 0                                      // 00000000DCF8: BEBC0180
	v_readlane_b32 s82, v3, 16                                 // 00000000DCFC: D2890052 00012103
	s_and_b32 s82, s82, 0xffffff                               // 00000000DD04: 8652FF52 00FFFFFF
	s_cmp_lt_u32 s82, s66                                      // 00000000DD0C: BF0A4252
	s_cselect_b32 s20, s36, s60                                // 00000000DD10: 85143C24
	v_readlane_b32 s82, v3, 17                                 // 00000000DD14: D2890052 00012303
	s_and_b32 s82, s82, 0xffffff                               // 00000000DD1C: 8652FF52 00FFFFFF
	s_cmp_lt_u32 s82, s66                                      // 00000000DD24: BF0A4252
	s_cselect_b32 s21, s36, s60                                // 00000000DD28: 85153C24
	s_mov_b64 exec, s[20:21]                                   // 00000000DD2C: BEFE0114
	global_atomic_add_f32 v6, v114, s[8:9] offset:8            // 00000000DD30: DD348008 00087206
	global_atomic_add_f32 v6, v118, s[8:9] offset:264          // 00000000DD38: DD348108 00087606
	s_mov_b64 exec, s[36:37]                                   // 00000000DD40: BEFE0124
	v_mov_b32_e32 v6, v69                                      // 00000000DD44: 7E0C0345
	s_mov_b64 s[60:61], 0                                      // 00000000DD48: BEBC0180
	v_readlane_b32 s82, v3, 18                                 // 00000000DD4C: D2890052 00012503
	s_and_b32 s82, s82, 0xffffff                               // 00000000DD54: 8652FF52 00FFFFFF
	s_cmp_lt_u32 s82, s66                                      // 00000000DD5C: BF0A4252
	s_cselect_b32 s20, s36, s60                                // 00000000DD60: 85143C24
	v_readlane_b32 s82, v3, 19                                 // 00000000DD64: D2890052 00012703
	s_and_b32 s82, s82, 0xffffff                               // 00000000DD6C: 8652FF52 00FFFFFF
	s_cmp_lt_u32 s82, s66                                      // 00000000DD74: BF0A4252
	s_cselect_b32 s21, s36, s60                                // 00000000DD78: 85153C24
	s_mov_b64 exec, s[20:21]                                   // 00000000DD7C: BEFE0114
	global_atomic_add_f32 v6, v115, s[8:9] offset:8            // 00000000DD80: DD348008 00087306
	global_atomic_add_f32 v6, v119, s[8:9] offset:264          // 00000000DD88: DD348108 00087706
	s_mov_b64 exec, s[36:37]                                   // 00000000DD90: BEFE0124
	v_mov_b32_e32 v6, v70                                      // 00000000DD94: 7E0C0346
	s_mov_b64 s[60:61], 0                                      // 00000000DD98: BEBC0180
	v_readlane_b32 s82, v3, 20                                 // 00000000DD9C: D2890052 00012903
	s_and_b32 s82, s82, 0xffffff                               // 00000000DDA4: 8652FF52 00FFFFFF
	s_cmp_lt_u32 s82, s66                                      // 00000000DDAC: BF0A4252
	s_cselect_b32 s20, s36, s60                                // 00000000DDB0: 85143C24
	v_readlane_b32 s82, v3, 21                                 // 00000000DDB4: D2890052 00012B03
	s_and_b32 s82, s82, 0xffffff                               // 00000000DDBC: 8652FF52 00FFFFFF
	s_cmp_lt_u32 s82, s66                                      // 00000000DDC4: BF0A4252
	s_cselect_b32 s21, s36, s60                                // 00000000DDC8: 85153C24
	s_mov_b64 exec, s[20:21]                                   // 00000000DDCC: BEFE0114
	global_atomic_add_f32 v6, v122, s[8:9] offset:8            // 00000000DDD0: DD348008 00087A06
	global_atomic_add_f32 v6, v126, s[8:9] offset:264          // 00000000DDD8: DD348108 00087E06
	s_mov_b64 exec, s[36:37]                                   // 00000000DDE0: BEFE0124
	v_mov_b32_e32 v6, v71                                      // 00000000DDE4: 7E0C0347
	s_mov_b64 s[60:61], 0                                      // 00000000DDE8: BEBC0180
	v_readlane_b32 s82, v3, 22                                 // 00000000DDEC: D2890052 00012D03
	s_and_b32 s82, s82, 0xffffff                               // 00000000DDF4: 8652FF52 00FFFFFF
	s_cmp_lt_u32 s82, s66                                      // 00000000DDFC: BF0A4252
	s_cselect_b32 s20, s36, s60                                // 00000000DE00: 85143C24
	v_readlane_b32 s82, v3, 23                                 // 00000000DE04: D2890052 00012F03
	s_and_b32 s82, s82, 0xffffff                               // 00000000DE0C: 8652FF52 00FFFFFF
	s_cmp_lt_u32 s82, s66                                      // 00000000DE14: BF0A4252
	s_cselect_b32 s21, s36, s60                                // 00000000DE18: 85153C24
	s_mov_b64 exec, s[20:21]                                   // 00000000DE1C: BEFE0114
	global_atomic_add_f32 v6, v123, s[8:9] offset:8            // 00000000DE20: DD348008 00087B06
	global_atomic_add_f32 v6, v127, s[8:9] offset:264          // 00000000DE28: DD348108 00087F06
	s_mov_b64 exec, s[36:37]                                   // 00000000DE30: BEFE0124
	v_mov_b32_e32 v6, v72                                      // 00000000DE34: 7E0C0348
	s_mov_b64 s[60:61], 0                                      // 00000000DE38: BEBC0180
	v_readlane_b32 s82, v3, 24                                 // 00000000DE3C: D2890052 00013103
	s_and_b32 s82, s82, 0xffffff                               // 00000000DE44: 8652FF52 00FFFFFF
	s_cmp_lt_u32 s82, s66                                      // 00000000DE4C: BF0A4252
	s_cselect_b32 s20, s36, s60                                // 00000000DE50: 85143C24
	v_readlane_b32 s82, v3, 25                                 // 00000000DE54: D2890052 00013303
	s_and_b32 s82, s82, 0xffffff                               // 00000000DE5C: 8652FF52 00FFFFFF
	s_cmp_lt_u32 s82, s66                                      // 00000000DE64: BF0A4252
	s_cselect_b32 s21, s36, s60                                // 00000000DE68: 85153C24
	s_mov_b64 exec, s[20:21]                                   // 00000000DE6C: BEFE0114
	global_atomic_add_f32 v6, v130, s[8:9] offset:8            // 00000000DE70: DD348008 00088206
	global_atomic_add_f32 v6, v134, s[8:9] offset:264          // 00000000DE78: DD348108 00088606
	s_mov_b64 exec, s[36:37]                                   // 00000000DE80: BEFE0124
	v_mov_b32_e32 v6, v73                                      // 00000000DE84: 7E0C0349
	s_mov_b64 s[60:61], 0                                      // 00000000DE88: BEBC0180
	v_readlane_b32 s82, v3, 26                                 // 00000000DE8C: D2890052 00013503
	s_and_b32 s82, s82, 0xffffff                               // 00000000DE94: 8652FF52 00FFFFFF
	s_cmp_lt_u32 s82, s66                                      // 00000000DE9C: BF0A4252
	s_cselect_b32 s20, s36, s60                                // 00000000DEA0: 85143C24
	v_readlane_b32 s82, v3, 27                                 // 00000000DEA4: D2890052 00013703
	s_and_b32 s82, s82, 0xffffff                               // 00000000DEAC: 8652FF52 00FFFFFF
	s_cmp_lt_u32 s82, s66                                      // 00000000DEB4: BF0A4252
	s_cselect_b32 s21, s36, s60                                // 00000000DEB8: 85153C24
	s_mov_b64 exec, s[20:21]                                   // 00000000DEBC: BEFE0114
	global_atomic_add_f32 v6, v131, s[8:9] offset:8            // 00000000DEC0: DD348008 00088306
	global_atomic_add_f32 v6, v135, s[8:9] offset:264          // 00000000DEC8: DD348108 00088706
	s_mov_b64 exec, s[36:37]                                   // 00000000DED0: BEFE0124
	v_mov_b32_e32 v6, v74                                      // 00000000DED4: 7E0C034A
	s_mov_b64 s[60:61], 0                                      // 00000000DED8: BEBC0180
	v_readlane_b32 s82, v3, 28                                 // 00000000DEDC: D2890052 00013903
	s_and_b32 s82, s82, 0xffffff                               // 00000000DEE4: 8652FF52 00FFFFFF
	s_cmp_lt_u32 s82, s66                                      // 00000000DEEC: BF0A4252
	s_cselect_b32 s20, s36, s60                                // 00000000DEF0: 85143C24
	v_readlane_b32 s82, v3, 29                                 // 00000000DEF4: D2890052 00013B03
	s_and_b32 s82, s82, 0xffffff                               // 00000000DEFC: 8652FF52 00FFFFFF
	s_cmp_lt_u32 s82, s66                                      // 00000000DF04: BF0A4252
	s_cselect_b32 s21, s36, s60                                // 00000000DF08: 85153C24
	s_mov_b64 exec, s[20:21]                                   // 00000000DF0C: BEFE0114
	global_atomic_add_f32 v6, v138, s[8:9] offset:8            // 00000000DF10: DD348008 00088A06
	global_atomic_add_f32 v6, v142, s[8:9] offset:264          // 00000000DF18: DD348108 00088E06
	s_mov_b64 exec, s[36:37]                                   // 00000000DF20: BEFE0124
	v_mov_b32_e32 v6, v75                                      // 00000000DF24: 7E0C034B
	s_mov_b64 s[60:61], 0                                      // 00000000DF28: BEBC0180
	v_readlane_b32 s82, v3, 30                                 // 00000000DF2C: D2890052 00013D03
	s_and_b32 s82, s82, 0xffffff                               // 00000000DF34: 8652FF52 00FFFFFF
	s_cmp_lt_u32 s82, s66                                      // 00000000DF3C: BF0A4252
	s_cselect_b32 s20, s36, s60                                // 00000000DF40: 85143C24
	v_readlane_b32 s82, v3, 31                                 // 00000000DF44: D2890052 00013F03
	s_and_b32 s82, s82, 0xffffff                               // 00000000DF4C: 8652FF52 00FFFFFF
	s_cmp_lt_u32 s82, s66                                      // 00000000DF54: BF0A4252
	s_cselect_b32 s21, s36, s60                                // 00000000DF58: 85153C24
	s_mov_b64 exec, s[20:21]                                   // 00000000DF5C: BEFE0114
	global_atomic_add_f32 v6, v139, s[8:9] offset:8            // 00000000DF60: DD348008 00088B06
	global_atomic_add_f32 v6, v143, s[8:9] offset:264          // 00000000DF68: DD348108 00088F06
	s_mov_b64 exec, s[36:37]                                   // 00000000DF70: BEFE0124
	ds_write_b64 v20, v[144:145]                               // 00000000DF74: D89A0000 00009014
	ds_write_b64 v20, v[148:149] offset:4352                   // 00000000DF7C: D89A1100 00009414
	ds_write_b64 v20, v[152:153] offset:8704                   // 00000000DF84: D89A2200 00009814
	ds_write_b64 v20, v[156:157] offset:13056                  // 00000000DF8C: D89A3300 00009C14
	ds_write_b64 v20, v[160:161] offset:17408                  // 00000000DF94: D89A4400 0000A014
	ds_write_b64 v20, v[164:165] offset:21760                  // 00000000DF9C: D89A5500 0000A414
	ds_write_b64 v20, v[168:169] offset:26112                  // 00000000DFA4: D89A6600 0000A814
	ds_write_b64 v20, v[172:173] offset:30464                  // 00000000DFAC: D89A7700 0000AC14
	ds_write_b64 v20, v[176:177] offset:2176                   // 00000000DFB4: D89A0880 0000B014
	ds_write_b64 v20, v[180:181] offset:6528                   // 00000000DFBC: D89A1980 0000B414
	ds_write_b64 v20, v[184:185] offset:10880                  // 00000000DFC4: D89A2A80 0000B814
	ds_write_b64 v20, v[188:189] offset:15232                  // 00000000DFCC: D89A3B80 0000BC14
	ds_write_b64 v20, v[192:193] offset:19584                  // 00000000DFD4: D89A4C80 0000C014
	ds_write_b64 v20, v[196:197] offset:23936                  // 00000000DFDC: D89A5D80 0000C414
	ds_write_b64 v20, v[200:201] offset:28288                  // 00000000DFE4: D89A6E80 0000C814
	ds_write_b64 v20, v[204:205] offset:32640                  // 00000000DFEC: D89A7F80 0000CC14
	s_waitcnt lgkmcnt(0)                                       // 00000000DFF4: BF8CC07F
	s_barrier                                                  // 00000000DFF8: BF8A0000
	ds_read_b32 v144, v21                                      // 00000000DFFC: D86C0000 90000015
	ds_read_b32 v145, v21 offset:64                            // 00000000E004: D86C0040 91000015
	ds_read_b32 v148, v21 offset:2176                          // 00000000E00C: D86C0880 94000015
	ds_read_b32 v149, v21 offset:2240                          // 00000000E014: D86C08C0 95000015
	ds_read_b32 v152, v21 offset:4352                          // 00000000E01C: D86C1100 98000015
	ds_read_b32 v153, v21 offset:4416                          // 00000000E024: D86C1140 99000015
	ds_read_b32 v156, v21 offset:6528                          // 00000000E02C: D86C1980 9C000015
	ds_read_b32 v157, v21 offset:6592                          // 00000000E034: D86C19C0 9D000015
	ds_read_b32 v160, v21 offset:8704                          // 00000000E03C: D86C2200 A0000015
	ds_read_b32 v161, v21 offset:8768                          // 00000000E044: D86C2240 A1000015
	ds_read_b32 v164, v21 offset:10880                         // 00000000E04C: D86C2A80 A4000015
	ds_read_b32 v165, v21 offset:10944                         // 00000000E054: D86C2AC0 A5000015
	ds_read_b32 v168, v21 offset:13056                         // 00000000E05C: D86C3300 A8000015
	ds_read_b32 v169, v21 offset:13120                         // 00000000E064: D86C3340 A9000015
	ds_read_b32 v172, v21 offset:15232                         // 00000000E06C: D86C3B80 AC000015
	ds_read_b32 v173, v21 offset:15296                         // 00000000E074: D86C3BC0 AD000015
	ds_read_b32 v176, v21 offset:17408                         // 00000000E07C: D86C4400 B0000015
	ds_read_b32 v177, v21 offset:17472                         // 00000000E084: D86C4440 B1000015
	ds_read_b32 v180, v21 offset:19584                         // 00000000E08C: D86C4C80 B4000015
	ds_read_b32 v181, v21 offset:19648                         // 00000000E094: D86C4CC0 B5000015
	ds_read_b32 v184, v21 offset:21760                         // 00000000E09C: D86C5500 B8000015
	ds_read_b32 v185, v21 offset:21824                         // 00000000E0A4: D86C5540 B9000015
	ds_read_b32 v188, v21 offset:23936                         // 00000000E0AC: D86C5D80 BC000015
	ds_read_b32 v189, v21 offset:24000                         // 00000000E0B4: D86C5DC0 BD000015
	ds_read_b32 v192, v21 offset:26112                         // 00000000E0BC: D86C6600 C0000015
	ds_read_b32 v193, v21 offset:26176                         // 00000000E0C4: D86C6640 C1000015
	ds_read_b32 v196, v21 offset:28288                         // 00000000E0CC: D86C6E80 C4000015
	ds_read_b32 v197, v21 offset:28352                         // 00000000E0D4: D86C6EC0 C5000015
	ds_read_b32 v200, v21 offset:30464                         // 00000000E0DC: D86C7700 C8000015
	ds_read_b32 v201, v21 offset:30528                         // 00000000E0E4: D86C7740 C9000015
	ds_read_b32 v204, v21 offset:32640                         // 00000000E0EC: D86C7F80 CC000015
	ds_read_b32 v205, v21 offset:32704                         // 00000000E0F4: D86C7FC0 CD000015
	s_mul_i32 s60, s65, 4                                      // 00000000E0FC: 923C8441
	s_add_u32 s8, s60, s8                                      // 00000000E100: 8008083C
	s_addc_u32 s9, 0, s9                                       // 00000000E104: 82090980
	s_waitcnt lgkmcnt(0)                                       // 00000000E108: BF8CC07F
	v_mov_b32_e32 v7, 0                                        // 00000000E10C: 7E0E0280
	s_mov_b64 exec, s[36:37]                                   // 00000000E110: BEFE0124
	v_mov_b32_e32 v6, v60                                      // 00000000E114: 7E0C033C
	s_mov_b64 s[60:61], 0                                      // 00000000E118: BEBC0180
	v_readlane_b32 s82, v3, 0                                  // 00000000E11C: D2890052 00010103
	s_and_b32 s82, s82, 0xffffff                               // 00000000E124: 8652FF52 00FFFFFF
	s_cmp_lt_u32 s82, s66                                      // 00000000E12C: BF0A4252
	s_cselect_b32 s20, s36, s60                                // 00000000E130: 85143C24
	v_readlane_b32 s82, v3, 1                                  // 00000000E134: D2890052 00010303
	s_and_b32 s82, s82, 0xffffff                               // 00000000E13C: 8652FF52 00FFFFFF
	s_cmp_lt_u32 s82, s66                                      // 00000000E144: BF0A4252
	s_cselect_b32 s21, s36, s60                                // 00000000E148: 85153C24
	s_mov_b64 exec, s[20:21]                                   // 00000000E14C: BEFE0114
	global_atomic_add_f32 v6, v144, s[8:9]                     // 00000000E150: DD348000 00089006
	global_atomic_add_f32 v6, v148, s[8:9] offset:256          // 00000000E158: DD348100 00089406
	s_mov_b64 exec, s[36:37]                                   // 00000000E160: BEFE0124
	v_mov_b32_e32 v6, v61                                      // 00000000E164: 7E0C033D
	s_mov_b64 s[60:61], 0                                      // 00000000E168: BEBC0180
	v_readlane_b32 s82, v3, 2                                  // 00000000E16C: D2890052 00010503
	s_and_b32 s82, s82, 0xffffff                               // 00000000E174: 8652FF52 00FFFFFF
	s_cmp_lt_u32 s82, s66                                      // 00000000E17C: BF0A4252
	s_cselect_b32 s20, s36, s60                                // 00000000E180: 85143C24
	v_readlane_b32 s82, v3, 3                                  // 00000000E184: D2890052 00010703
	s_and_b32 s82, s82, 0xffffff                               // 00000000E18C: 8652FF52 00FFFFFF
	s_cmp_lt_u32 s82, s66                                      // 00000000E194: BF0A4252
	s_cselect_b32 s21, s36, s60                                // 00000000E198: 85153C24
	s_mov_b64 exec, s[20:21]                                   // 00000000E19C: BEFE0114
	global_atomic_add_f32 v6, v145, s[8:9]                     // 00000000E1A0: DD348000 00089106
	global_atomic_add_f32 v6, v149, s[8:9] offset:256          // 00000000E1A8: DD348100 00089506
	s_mov_b64 exec, s[36:37]                                   // 00000000E1B0: BEFE0124
	v_mov_b32_e32 v6, v62                                      // 00000000E1B4: 7E0C033E
	s_mov_b64 s[60:61], 0                                      // 00000000E1B8: BEBC0180
	v_readlane_b32 s82, v3, 4                                  // 00000000E1BC: D2890052 00010903
	s_and_b32 s82, s82, 0xffffff                               // 00000000E1C4: 8652FF52 00FFFFFF
	s_cmp_lt_u32 s82, s66                                      // 00000000E1CC: BF0A4252
	s_cselect_b32 s20, s36, s60                                // 00000000E1D0: 85143C24
	v_readlane_b32 s82, v3, 5                                  // 00000000E1D4: D2890052 00010B03
	s_and_b32 s82, s82, 0xffffff                               // 00000000E1DC: 8652FF52 00FFFFFF
	s_cmp_lt_u32 s82, s66                                      // 00000000E1E4: BF0A4252
	s_cselect_b32 s21, s36, s60                                // 00000000E1E8: 85153C24
	s_mov_b64 exec, s[20:21]                                   // 00000000E1EC: BEFE0114
	global_atomic_add_f32 v6, v152, s[8:9]                     // 00000000E1F0: DD348000 00089806
	global_atomic_add_f32 v6, v156, s[8:9] offset:256          // 00000000E1F8: DD348100 00089C06
	s_mov_b64 exec, s[36:37]                                   // 00000000E200: BEFE0124
	v_mov_b32_e32 v6, v63                                      // 00000000E204: 7E0C033F
	s_mov_b64 s[60:61], 0                                      // 00000000E208: BEBC0180
	v_readlane_b32 s82, v3, 6                                  // 00000000E20C: D2890052 00010D03
	s_and_b32 s82, s82, 0xffffff                               // 00000000E214: 8652FF52 00FFFFFF
	s_cmp_lt_u32 s82, s66                                      // 00000000E21C: BF0A4252
	s_cselect_b32 s20, s36, s60                                // 00000000E220: 85143C24
	v_readlane_b32 s82, v3, 7                                  // 00000000E224: D2890052 00010F03
	s_and_b32 s82, s82, 0xffffff                               // 00000000E22C: 8652FF52 00FFFFFF
	s_cmp_lt_u32 s82, s66                                      // 00000000E234: BF0A4252
	s_cselect_b32 s21, s36, s60                                // 00000000E238: 85153C24
	s_mov_b64 exec, s[20:21]                                   // 00000000E23C: BEFE0114
	global_atomic_add_f32 v6, v153, s[8:9]                     // 00000000E240: DD348000 00089906
	global_atomic_add_f32 v6, v157, s[8:9] offset:256          // 00000000E248: DD348100 00089D06
	s_mov_b64 exec, s[36:37]                                   // 00000000E250: BEFE0124
	v_mov_b32_e32 v6, v64                                      // 00000000E254: 7E0C0340
	s_mov_b64 s[60:61], 0                                      // 00000000E258: BEBC0180
	v_readlane_b32 s82, v3, 8                                  // 00000000E25C: D2890052 00011103
	s_and_b32 s82, s82, 0xffffff                               // 00000000E264: 8652FF52 00FFFFFF
	s_cmp_lt_u32 s82, s66                                      // 00000000E26C: BF0A4252
	s_cselect_b32 s20, s36, s60                                // 00000000E270: 85143C24
	v_readlane_b32 s82, v3, 9                                  // 00000000E274: D2890052 00011303
	s_and_b32 s82, s82, 0xffffff                               // 00000000E27C: 8652FF52 00FFFFFF
	s_cmp_lt_u32 s82, s66                                      // 00000000E284: BF0A4252
	s_cselect_b32 s21, s36, s60                                // 00000000E288: 85153C24
	s_mov_b64 exec, s[20:21]                                   // 00000000E28C: BEFE0114
	global_atomic_add_f32 v6, v160, s[8:9]                     // 00000000E290: DD348000 0008A006
	global_atomic_add_f32 v6, v164, s[8:9] offset:256          // 00000000E298: DD348100 0008A406
	s_mov_b64 exec, s[36:37]                                   // 00000000E2A0: BEFE0124
	v_mov_b32_e32 v6, v65                                      // 00000000E2A4: 7E0C0341
	s_mov_b64 s[60:61], 0                                      // 00000000E2A8: BEBC0180
	v_readlane_b32 s82, v3, 10                                 // 00000000E2AC: D2890052 00011503
	s_and_b32 s82, s82, 0xffffff                               // 00000000E2B4: 8652FF52 00FFFFFF
	s_cmp_lt_u32 s82, s66                                      // 00000000E2BC: BF0A4252
	s_cselect_b32 s20, s36, s60                                // 00000000E2C0: 85143C24
	v_readlane_b32 s82, v3, 11                                 // 00000000E2C4: D2890052 00011703
	s_and_b32 s82, s82, 0xffffff                               // 00000000E2CC: 8652FF52 00FFFFFF
	s_cmp_lt_u32 s82, s66                                      // 00000000E2D4: BF0A4252
	s_cselect_b32 s21, s36, s60                                // 00000000E2D8: 85153C24
	s_mov_b64 exec, s[20:21]                                   // 00000000E2DC: BEFE0114
	global_atomic_add_f32 v6, v161, s[8:9]                     // 00000000E2E0: DD348000 0008A106
	global_atomic_add_f32 v6, v165, s[8:9] offset:256          // 00000000E2E8: DD348100 0008A506
	s_mov_b64 exec, s[36:37]                                   // 00000000E2F0: BEFE0124
	v_mov_b32_e32 v6, v66                                      // 00000000E2F4: 7E0C0342
	s_mov_b64 s[60:61], 0                                      // 00000000E2F8: BEBC0180
	v_readlane_b32 s82, v3, 12                                 // 00000000E2FC: D2890052 00011903
	s_and_b32 s82, s82, 0xffffff                               // 00000000E304: 8652FF52 00FFFFFF
	s_cmp_lt_u32 s82, s66                                      // 00000000E30C: BF0A4252
	s_cselect_b32 s20, s36, s60                                // 00000000E310: 85143C24
	v_readlane_b32 s82, v3, 13                                 // 00000000E314: D2890052 00011B03
	s_and_b32 s82, s82, 0xffffff                               // 00000000E31C: 8652FF52 00FFFFFF
	s_cmp_lt_u32 s82, s66                                      // 00000000E324: BF0A4252
	s_cselect_b32 s21, s36, s60                                // 00000000E328: 85153C24
	s_mov_b64 exec, s[20:21]                                   // 00000000E32C: BEFE0114
	global_atomic_add_f32 v6, v168, s[8:9]                     // 00000000E330: DD348000 0008A806
	global_atomic_add_f32 v6, v172, s[8:9] offset:256          // 00000000E338: DD348100 0008AC06
	s_mov_b64 exec, s[36:37]                                   // 00000000E340: BEFE0124
	v_mov_b32_e32 v6, v67                                      // 00000000E344: 7E0C0343
	s_mov_b64 s[60:61], 0                                      // 00000000E348: BEBC0180
	v_readlane_b32 s82, v3, 14                                 // 00000000E34C: D2890052 00011D03
	s_and_b32 s82, s82, 0xffffff                               // 00000000E354: 8652FF52 00FFFFFF
	s_cmp_lt_u32 s82, s66                                      // 00000000E35C: BF0A4252
	s_cselect_b32 s20, s36, s60                                // 00000000E360: 85143C24
	v_readlane_b32 s82, v3, 15                                 // 00000000E364: D2890052 00011F03
	s_and_b32 s82, s82, 0xffffff                               // 00000000E36C: 8652FF52 00FFFFFF
	s_cmp_lt_u32 s82, s66                                      // 00000000E374: BF0A4252
	s_cselect_b32 s21, s36, s60                                // 00000000E378: 85153C24
	s_mov_b64 exec, s[20:21]                                   // 00000000E37C: BEFE0114
	global_atomic_add_f32 v6, v169, s[8:9]                     // 00000000E380: DD348000 0008A906
	global_atomic_add_f32 v6, v173, s[8:9] offset:256          // 00000000E388: DD348100 0008AD06
	s_mov_b64 exec, s[36:37]                                   // 00000000E390: BEFE0124
	v_mov_b32_e32 v6, v68                                      // 00000000E394: 7E0C0344
	s_mov_b64 s[60:61], 0                                      // 00000000E398: BEBC0180
	v_readlane_b32 s82, v3, 16                                 // 00000000E39C: D2890052 00012103
	s_and_b32 s82, s82, 0xffffff                               // 00000000E3A4: 8652FF52 00FFFFFF
	s_cmp_lt_u32 s82, s66                                      // 00000000E3AC: BF0A4252
	s_cselect_b32 s20, s36, s60                                // 00000000E3B0: 85143C24
	v_readlane_b32 s82, v3, 17                                 // 00000000E3B4: D2890052 00012303
	s_and_b32 s82, s82, 0xffffff                               // 00000000E3BC: 8652FF52 00FFFFFF
	s_cmp_lt_u32 s82, s66                                      // 00000000E3C4: BF0A4252
	s_cselect_b32 s21, s36, s60                                // 00000000E3C8: 85153C24
	s_mov_b64 exec, s[20:21]                                   // 00000000E3CC: BEFE0114
	global_atomic_add_f32 v6, v176, s[8:9]                     // 00000000E3D0: DD348000 0008B006
	global_atomic_add_f32 v6, v180, s[8:9] offset:256          // 00000000E3D8: DD348100 0008B406
	s_mov_b64 exec, s[36:37]                                   // 00000000E3E0: BEFE0124
	v_mov_b32_e32 v6, v69                                      // 00000000E3E4: 7E0C0345
	s_mov_b64 s[60:61], 0                                      // 00000000E3E8: BEBC0180
	v_readlane_b32 s82, v3, 18                                 // 00000000E3EC: D2890052 00012503
	s_and_b32 s82, s82, 0xffffff                               // 00000000E3F4: 8652FF52 00FFFFFF
	s_cmp_lt_u32 s82, s66                                      // 00000000E3FC: BF0A4252
	s_cselect_b32 s20, s36, s60                                // 00000000E400: 85143C24
	v_readlane_b32 s82, v3, 19                                 // 00000000E404: D2890052 00012703
	s_and_b32 s82, s82, 0xffffff                               // 00000000E40C: 8652FF52 00FFFFFF
	s_cmp_lt_u32 s82, s66                                      // 00000000E414: BF0A4252
	s_cselect_b32 s21, s36, s60                                // 00000000E418: 85153C24
	s_mov_b64 exec, s[20:21]                                   // 00000000E41C: BEFE0114
	global_atomic_add_f32 v6, v177, s[8:9]                     // 00000000E420: DD348000 0008B106
	global_atomic_add_f32 v6, v181, s[8:9] offset:256          // 00000000E428: DD348100 0008B506
	s_mov_b64 exec, s[36:37]                                   // 00000000E430: BEFE0124
	v_mov_b32_e32 v6, v70                                      // 00000000E434: 7E0C0346
	s_mov_b64 s[60:61], 0                                      // 00000000E438: BEBC0180
	v_readlane_b32 s82, v3, 20                                 // 00000000E43C: D2890052 00012903
	s_and_b32 s82, s82, 0xffffff                               // 00000000E444: 8652FF52 00FFFFFF
	s_cmp_lt_u32 s82, s66                                      // 00000000E44C: BF0A4252
	s_cselect_b32 s20, s36, s60                                // 00000000E450: 85143C24
	v_readlane_b32 s82, v3, 21                                 // 00000000E454: D2890052 00012B03
	s_and_b32 s82, s82, 0xffffff                               // 00000000E45C: 8652FF52 00FFFFFF
	s_cmp_lt_u32 s82, s66                                      // 00000000E464: BF0A4252
	s_cselect_b32 s21, s36, s60                                // 00000000E468: 85153C24
	s_mov_b64 exec, s[20:21]                                   // 00000000E46C: BEFE0114
	global_atomic_add_f32 v6, v184, s[8:9]                     // 00000000E470: DD348000 0008B806
	global_atomic_add_f32 v6, v188, s[8:9] offset:256          // 00000000E478: DD348100 0008BC06
	s_mov_b64 exec, s[36:37]                                   // 00000000E480: BEFE0124
	v_mov_b32_e32 v6, v71                                      // 00000000E484: 7E0C0347
	s_mov_b64 s[60:61], 0                                      // 00000000E488: BEBC0180
	v_readlane_b32 s82, v3, 22                                 // 00000000E48C: D2890052 00012D03
	s_and_b32 s82, s82, 0xffffff                               // 00000000E494: 8652FF52 00FFFFFF
	s_cmp_lt_u32 s82, s66                                      // 00000000E49C: BF0A4252
	s_cselect_b32 s20, s36, s60                                // 00000000E4A0: 85143C24
	v_readlane_b32 s82, v3, 23                                 // 00000000E4A4: D2890052 00012F03
	s_and_b32 s82, s82, 0xffffff                               // 00000000E4AC: 8652FF52 00FFFFFF
	s_cmp_lt_u32 s82, s66                                      // 00000000E4B4: BF0A4252
	s_cselect_b32 s21, s36, s60                                // 00000000E4B8: 85153C24
	s_mov_b64 exec, s[20:21]                                   // 00000000E4BC: BEFE0114
	global_atomic_add_f32 v6, v185, s[8:9]                     // 00000000E4C0: DD348000 0008B906
	global_atomic_add_f32 v6, v189, s[8:9] offset:256          // 00000000E4C8: DD348100 0008BD06
	s_mov_b64 exec, s[36:37]                                   // 00000000E4D0: BEFE0124
	v_mov_b32_e32 v6, v72                                      // 00000000E4D4: 7E0C0348
	s_mov_b64 s[60:61], 0                                      // 00000000E4D8: BEBC0180
	v_readlane_b32 s82, v3, 24                                 // 00000000E4DC: D2890052 00013103
	s_and_b32 s82, s82, 0xffffff                               // 00000000E4E4: 8652FF52 00FFFFFF
	s_cmp_lt_u32 s82, s66                                      // 00000000E4EC: BF0A4252
	s_cselect_b32 s20, s36, s60                                // 00000000E4F0: 85143C24
	v_readlane_b32 s82, v3, 25                                 // 00000000E4F4: D2890052 00013303
	s_and_b32 s82, s82, 0xffffff                               // 00000000E4FC: 8652FF52 00FFFFFF
	s_cmp_lt_u32 s82, s66                                      // 00000000E504: BF0A4252
	s_cselect_b32 s21, s36, s60                                // 00000000E508: 85153C24
	s_mov_b64 exec, s[20:21]                                   // 00000000E50C: BEFE0114
	global_atomic_add_f32 v6, v192, s[8:9]                     // 00000000E510: DD348000 0008C006
	global_atomic_add_f32 v6, v196, s[8:9] offset:256          // 00000000E518: DD348100 0008C406
	s_mov_b64 exec, s[36:37]                                   // 00000000E520: BEFE0124
	v_mov_b32_e32 v6, v73                                      // 00000000E524: 7E0C0349
	s_mov_b64 s[60:61], 0                                      // 00000000E528: BEBC0180
	v_readlane_b32 s82, v3, 26                                 // 00000000E52C: D2890052 00013503
	s_and_b32 s82, s82, 0xffffff                               // 00000000E534: 8652FF52 00FFFFFF
	s_cmp_lt_u32 s82, s66                                      // 00000000E53C: BF0A4252
	s_cselect_b32 s20, s36, s60                                // 00000000E540: 85143C24
	v_readlane_b32 s82, v3, 27                                 // 00000000E544: D2890052 00013703
	s_and_b32 s82, s82, 0xffffff                               // 00000000E54C: 8652FF52 00FFFFFF
	s_cmp_lt_u32 s82, s66                                      // 00000000E554: BF0A4252
	s_cselect_b32 s21, s36, s60                                // 00000000E558: 85153C24
	s_mov_b64 exec, s[20:21]                                   // 00000000E55C: BEFE0114
	global_atomic_add_f32 v6, v193, s[8:9]                     // 00000000E560: DD348000 0008C106
	global_atomic_add_f32 v6, v197, s[8:9] offset:256          // 00000000E568: DD348100 0008C506
	s_mov_b64 exec, s[36:37]                                   // 00000000E570: BEFE0124
	v_mov_b32_e32 v6, v74                                      // 00000000E574: 7E0C034A
	s_mov_b64 s[60:61], 0                                      // 00000000E578: BEBC0180
	v_readlane_b32 s82, v3, 28                                 // 00000000E57C: D2890052 00013903
	s_and_b32 s82, s82, 0xffffff                               // 00000000E584: 8652FF52 00FFFFFF
	s_cmp_lt_u32 s82, s66                                      // 00000000E58C: BF0A4252
	s_cselect_b32 s20, s36, s60                                // 00000000E590: 85143C24
	v_readlane_b32 s82, v3, 29                                 // 00000000E594: D2890052 00013B03
	s_and_b32 s82, s82, 0xffffff                               // 00000000E59C: 8652FF52 00FFFFFF
	s_cmp_lt_u32 s82, s66                                      // 00000000E5A4: BF0A4252
	s_cselect_b32 s21, s36, s60                                // 00000000E5A8: 85153C24
	s_mov_b64 exec, s[20:21]                                   // 00000000E5AC: BEFE0114
	global_atomic_add_f32 v6, v200, s[8:9]                     // 00000000E5B0: DD348000 0008C806
	global_atomic_add_f32 v6, v204, s[8:9] offset:256          // 00000000E5B8: DD348100 0008CC06
	s_mov_b64 exec, s[36:37]                                   // 00000000E5C0: BEFE0124
	v_mov_b32_e32 v6, v75                                      // 00000000E5C4: 7E0C034B
	s_mov_b64 s[60:61], 0                                      // 00000000E5C8: BEBC0180
	v_readlane_b32 s82, v3, 30                                 // 00000000E5CC: D2890052 00013D03
	s_and_b32 s82, s82, 0xffffff                               // 00000000E5D4: 8652FF52 00FFFFFF
	s_cmp_lt_u32 s82, s66                                      // 00000000E5DC: BF0A4252
	s_cselect_b32 s20, s36, s60                                // 00000000E5E0: 85143C24
	v_readlane_b32 s82, v3, 31                                 // 00000000E5E4: D2890052 00013F03
	s_and_b32 s82, s82, 0xffffff                               // 00000000E5EC: 8652FF52 00FFFFFF
	s_cmp_lt_u32 s82, s66                                      // 00000000E5F4: BF0A4252
	s_cselect_b32 s21, s36, s60                                // 00000000E5F8: 85153C24
	s_mov_b64 exec, s[20:21]                                   // 00000000E5FC: BEFE0114
	global_atomic_add_f32 v6, v201, s[8:9]                     // 00000000E600: DD348000 0008C906
	global_atomic_add_f32 v6, v205, s[8:9] offset:256          // 00000000E608: DD348100 0008CD06
	s_mov_b64 exec, s[36:37]                                   // 00000000E610: BEFE0124
	ds_write_b64 v20, v[146:147]                               // 00000000E614: D89A0000 00009214
	ds_write_b64 v20, v[150:151] offset:4352                   // 00000000E61C: D89A1100 00009614
	ds_write_b64 v20, v[154:155] offset:8704                   // 00000000E624: D89A2200 00009A14
	ds_write_b64 v20, v[158:159] offset:13056                  // 00000000E62C: D89A3300 00009E14
	ds_write_b64 v20, v[162:163] offset:17408                  // 00000000E634: D89A4400 0000A214
	ds_write_b64 v20, v[166:167] offset:21760                  // 00000000E63C: D89A5500 0000A614
	ds_write_b64 v20, v[170:171] offset:26112                  // 00000000E644: D89A6600 0000AA14
	ds_write_b64 v20, v[174:175] offset:30464                  // 00000000E64C: D89A7700 0000AE14
	ds_write_b64 v20, v[178:179] offset:2176                   // 00000000E654: D89A0880 0000B214
	ds_write_b64 v20, v[182:183] offset:6528                   // 00000000E65C: D89A1980 0000B614
	ds_write_b64 v20, v[186:187] offset:10880                  // 00000000E664: D89A2A80 0000BA14
	ds_write_b64 v20, v[190:191] offset:15232                  // 00000000E66C: D89A3B80 0000BE14
	ds_write_b64 v20, v[194:195] offset:19584                  // 00000000E674: D89A4C80 0000C214
	ds_write_b64 v20, v[198:199] offset:23936                  // 00000000E67C: D89A5D80 0000C614
	ds_write_b64 v20, v[202:203] offset:28288                  // 00000000E684: D89A6E80 0000CA14
	ds_write_b64 v20, v[206:207] offset:32640                  // 00000000E68C: D89A7F80 0000CE14
	s_waitcnt lgkmcnt(0)                                       // 00000000E694: BF8CC07F
	s_barrier                                                  // 00000000E698: BF8A0000
	ds_read_b32 v146, v21                                      // 00000000E69C: D86C0000 92000015
	ds_read_b32 v147, v21 offset:64                            // 00000000E6A4: D86C0040 93000015
	ds_read_b32 v150, v21 offset:2176                          // 00000000E6AC: D86C0880 96000015
	ds_read_b32 v151, v21 offset:2240                          // 00000000E6B4: D86C08C0 97000015
	ds_read_b32 v154, v21 offset:4352                          // 00000000E6BC: D86C1100 9A000015
	ds_read_b32 v155, v21 offset:4416                          // 00000000E6C4: D86C1140 9B000015
	ds_read_b32 v158, v21 offset:6528                          // 00000000E6CC: D86C1980 9E000015
	ds_read_b32 v159, v21 offset:6592                          // 00000000E6D4: D86C19C0 9F000015
	ds_read_b32 v162, v21 offset:8704                          // 00000000E6DC: D86C2200 A2000015
	ds_read_b32 v163, v21 offset:8768                          // 00000000E6E4: D86C2240 A3000015
	ds_read_b32 v166, v21 offset:10880                         // 00000000E6EC: D86C2A80 A6000015
	ds_read_b32 v167, v21 offset:10944                         // 00000000E6F4: D86C2AC0 A7000015
	ds_read_b32 v170, v21 offset:13056                         // 00000000E6FC: D86C3300 AA000015
	ds_read_b32 v171, v21 offset:13120                         // 00000000E704: D86C3340 AB000015
	ds_read_b32 v174, v21 offset:15232                         // 00000000E70C: D86C3B80 AE000015
	ds_read_b32 v175, v21 offset:15296                         // 00000000E714: D86C3BC0 AF000015
	ds_read_b32 v178, v21 offset:17408                         // 00000000E71C: D86C4400 B2000015
	ds_read_b32 v179, v21 offset:17472                         // 00000000E724: D86C4440 B3000015
	ds_read_b32 v182, v21 offset:19584                         // 00000000E72C: D86C4C80 B6000015
	ds_read_b32 v183, v21 offset:19648                         // 00000000E734: D86C4CC0 B7000015
	ds_read_b32 v186, v21 offset:21760                         // 00000000E73C: D86C5500 BA000015
	ds_read_b32 v187, v21 offset:21824                         // 00000000E744: D86C5540 BB000015
	ds_read_b32 v190, v21 offset:23936                         // 00000000E74C: D86C5D80 BE000015
	ds_read_b32 v191, v21 offset:24000                         // 00000000E754: D86C5DC0 BF000015
	ds_read_b32 v194, v21 offset:26112                         // 00000000E75C: D86C6600 C2000015
	ds_read_b32 v195, v21 offset:26176                         // 00000000E764: D86C6640 C3000015
	ds_read_b32 v198, v21 offset:28288                         // 00000000E76C: D86C6E80 C6000015
	ds_read_b32 v199, v21 offset:28352                         // 00000000E774: D86C6EC0 C7000015
	ds_read_b32 v202, v21 offset:30464                         // 00000000E77C: D86C7700 CA000015
	ds_read_b32 v203, v21 offset:30528                         // 00000000E784: D86C7740 CB000015
	ds_read_b32 v206, v21 offset:32640                         // 00000000E78C: D86C7F80 CE000015
	ds_read_b32 v207, v21 offset:32704                         // 00000000E794: D86C7FC0 CF000015
	s_waitcnt lgkmcnt(0)                                       // 00000000E79C: BF8CC07F
	v_mov_b32_e32 v7, 0                                        // 00000000E7A0: 7E0E0280
	s_mov_b64 exec, s[36:37]                                   // 00000000E7A4: BEFE0124
	v_mov_b32_e32 v6, v60                                      // 00000000E7A8: 7E0C033C
	s_mov_b64 s[60:61], 0                                      // 00000000E7AC: BEBC0180
	v_readlane_b32 s82, v3, 0                                  // 00000000E7B0: D2890052 00010103
	s_and_b32 s82, s82, 0xffffff                               // 00000000E7B8: 8652FF52 00FFFFFF
	s_cmp_lt_u32 s82, s66                                      // 00000000E7C0: BF0A4252
	s_cselect_b32 s20, s36, s60                                // 00000000E7C4: 85143C24
	v_readlane_b32 s82, v3, 1                                  // 00000000E7C8: D2890052 00010303
	s_and_b32 s82, s82, 0xffffff                               // 00000000E7D0: 8652FF52 00FFFFFF
	s_cmp_lt_u32 s82, s66                                      // 00000000E7D8: BF0A4252
	s_cselect_b32 s21, s36, s60                                // 00000000E7DC: 85153C24
	s_mov_b64 exec, s[20:21]                                   // 00000000E7E0: BEFE0114
	global_atomic_add_f32 v6, v146, s[8:9] offset:8            // 00000000E7E4: DD348008 00089206
	global_atomic_add_f32 v6, v150, s[8:9] offset:264          // 00000000E7EC: DD348108 00089606
	s_mov_b64 exec, s[36:37]                                   // 00000000E7F4: BEFE0124
	v_mov_b32_e32 v6, v61                                      // 00000000E7F8: 7E0C033D
	s_mov_b64 s[60:61], 0                                      // 00000000E7FC: BEBC0180
	v_readlane_b32 s82, v3, 2                                  // 00000000E800: D2890052 00010503
	s_and_b32 s82, s82, 0xffffff                               // 00000000E808: 8652FF52 00FFFFFF
	s_cmp_lt_u32 s82, s66                                      // 00000000E810: BF0A4252
	s_cselect_b32 s20, s36, s60                                // 00000000E814: 85143C24
	v_readlane_b32 s82, v3, 3                                  // 00000000E818: D2890052 00010703
	s_and_b32 s82, s82, 0xffffff                               // 00000000E820: 8652FF52 00FFFFFF
	s_cmp_lt_u32 s82, s66                                      // 00000000E828: BF0A4252
	s_cselect_b32 s21, s36, s60                                // 00000000E82C: 85153C24
	s_mov_b64 exec, s[20:21]                                   // 00000000E830: BEFE0114
	global_atomic_add_f32 v6, v147, s[8:9] offset:8            // 00000000E834: DD348008 00089306
	global_atomic_add_f32 v6, v151, s[8:9] offset:264          // 00000000E83C: DD348108 00089706
	s_mov_b64 exec, s[36:37]                                   // 00000000E844: BEFE0124
	v_mov_b32_e32 v6, v62                                      // 00000000E848: 7E0C033E
	s_mov_b64 s[60:61], 0                                      // 00000000E84C: BEBC0180
	v_readlane_b32 s82, v3, 4                                  // 00000000E850: D2890052 00010903
	s_and_b32 s82, s82, 0xffffff                               // 00000000E858: 8652FF52 00FFFFFF
	s_cmp_lt_u32 s82, s66                                      // 00000000E860: BF0A4252
	s_cselect_b32 s20, s36, s60                                // 00000000E864: 85143C24
	v_readlane_b32 s82, v3, 5                                  // 00000000E868: D2890052 00010B03
	s_and_b32 s82, s82, 0xffffff                               // 00000000E870: 8652FF52 00FFFFFF
	s_cmp_lt_u32 s82, s66                                      // 00000000E878: BF0A4252
	s_cselect_b32 s21, s36, s60                                // 00000000E87C: 85153C24
	s_mov_b64 exec, s[20:21]                                   // 00000000E880: BEFE0114
	global_atomic_add_f32 v6, v154, s[8:9] offset:8            // 00000000E884: DD348008 00089A06
	global_atomic_add_f32 v6, v158, s[8:9] offset:264          // 00000000E88C: DD348108 00089E06
	s_mov_b64 exec, s[36:37]                                   // 00000000E894: BEFE0124
	v_mov_b32_e32 v6, v63                                      // 00000000E898: 7E0C033F
	s_mov_b64 s[60:61], 0                                      // 00000000E89C: BEBC0180
	v_readlane_b32 s82, v3, 6                                  // 00000000E8A0: D2890052 00010D03
	s_and_b32 s82, s82, 0xffffff                               // 00000000E8A8: 8652FF52 00FFFFFF
	s_cmp_lt_u32 s82, s66                                      // 00000000E8B0: BF0A4252
	s_cselect_b32 s20, s36, s60                                // 00000000E8B4: 85143C24
	v_readlane_b32 s82, v3, 7                                  // 00000000E8B8: D2890052 00010F03
	s_and_b32 s82, s82, 0xffffff                               // 00000000E8C0: 8652FF52 00FFFFFF
	s_cmp_lt_u32 s82, s66                                      // 00000000E8C8: BF0A4252
	s_cselect_b32 s21, s36, s60                                // 00000000E8CC: 85153C24
	s_mov_b64 exec, s[20:21]                                   // 00000000E8D0: BEFE0114
	global_atomic_add_f32 v6, v155, s[8:9] offset:8            // 00000000E8D4: DD348008 00089B06
	global_atomic_add_f32 v6, v159, s[8:9] offset:264          // 00000000E8DC: DD348108 00089F06
	s_mov_b64 exec, s[36:37]                                   // 00000000E8E4: BEFE0124
	v_mov_b32_e32 v6, v64                                      // 00000000E8E8: 7E0C0340
	s_mov_b64 s[60:61], 0                                      // 00000000E8EC: BEBC0180
	v_readlane_b32 s82, v3, 8                                  // 00000000E8F0: D2890052 00011103
	s_and_b32 s82, s82, 0xffffff                               // 00000000E8F8: 8652FF52 00FFFFFF
	s_cmp_lt_u32 s82, s66                                      // 00000000E900: BF0A4252
	s_cselect_b32 s20, s36, s60                                // 00000000E904: 85143C24
	v_readlane_b32 s82, v3, 9                                  // 00000000E908: D2890052 00011303
	s_and_b32 s82, s82, 0xffffff                               // 00000000E910: 8652FF52 00FFFFFF
	s_cmp_lt_u32 s82, s66                                      // 00000000E918: BF0A4252
	s_cselect_b32 s21, s36, s60                                // 00000000E91C: 85153C24
	s_mov_b64 exec, s[20:21]                                   // 00000000E920: BEFE0114
	global_atomic_add_f32 v6, v162, s[8:9] offset:8            // 00000000E924: DD348008 0008A206
	global_atomic_add_f32 v6, v166, s[8:9] offset:264          // 00000000E92C: DD348108 0008A606
	s_mov_b64 exec, s[36:37]                                   // 00000000E934: BEFE0124
	v_mov_b32_e32 v6, v65                                      // 00000000E938: 7E0C0341
	s_mov_b64 s[60:61], 0                                      // 00000000E93C: BEBC0180
	v_readlane_b32 s82, v3, 10                                 // 00000000E940: D2890052 00011503
	s_and_b32 s82, s82, 0xffffff                               // 00000000E948: 8652FF52 00FFFFFF
	s_cmp_lt_u32 s82, s66                                      // 00000000E950: BF0A4252
	s_cselect_b32 s20, s36, s60                                // 00000000E954: 85143C24
	v_readlane_b32 s82, v3, 11                                 // 00000000E958: D2890052 00011703
	s_and_b32 s82, s82, 0xffffff                               // 00000000E960: 8652FF52 00FFFFFF
	s_cmp_lt_u32 s82, s66                                      // 00000000E968: BF0A4252
	s_cselect_b32 s21, s36, s60                                // 00000000E96C: 85153C24
	s_mov_b64 exec, s[20:21]                                   // 00000000E970: BEFE0114
	global_atomic_add_f32 v6, v163, s[8:9] offset:8            // 00000000E974: DD348008 0008A306
	global_atomic_add_f32 v6, v167, s[8:9] offset:264          // 00000000E97C: DD348108 0008A706
	s_mov_b64 exec, s[36:37]                                   // 00000000E984: BEFE0124
	v_mov_b32_e32 v6, v66                                      // 00000000E988: 7E0C0342
	s_mov_b64 s[60:61], 0                                      // 00000000E98C: BEBC0180
	v_readlane_b32 s82, v3, 12                                 // 00000000E990: D2890052 00011903
	s_and_b32 s82, s82, 0xffffff                               // 00000000E998: 8652FF52 00FFFFFF
	s_cmp_lt_u32 s82, s66                                      // 00000000E9A0: BF0A4252
	s_cselect_b32 s20, s36, s60                                // 00000000E9A4: 85143C24
	v_readlane_b32 s82, v3, 13                                 // 00000000E9A8: D2890052 00011B03
	s_and_b32 s82, s82, 0xffffff                               // 00000000E9B0: 8652FF52 00FFFFFF
	s_cmp_lt_u32 s82, s66                                      // 00000000E9B8: BF0A4252
	s_cselect_b32 s21, s36, s60                                // 00000000E9BC: 85153C24
	s_mov_b64 exec, s[20:21]                                   // 00000000E9C0: BEFE0114
	global_atomic_add_f32 v6, v170, s[8:9] offset:8            // 00000000E9C4: DD348008 0008AA06
	global_atomic_add_f32 v6, v174, s[8:9] offset:264          // 00000000E9CC: DD348108 0008AE06
	s_mov_b64 exec, s[36:37]                                   // 00000000E9D4: BEFE0124
	v_mov_b32_e32 v6, v67                                      // 00000000E9D8: 7E0C0343
	s_mov_b64 s[60:61], 0                                      // 00000000E9DC: BEBC0180
	v_readlane_b32 s82, v3, 14                                 // 00000000E9E0: D2890052 00011D03
	s_and_b32 s82, s82, 0xffffff                               // 00000000E9E8: 8652FF52 00FFFFFF
	s_cmp_lt_u32 s82, s66                                      // 00000000E9F0: BF0A4252
	s_cselect_b32 s20, s36, s60                                // 00000000E9F4: 85143C24
	v_readlane_b32 s82, v3, 15                                 // 00000000E9F8: D2890052 00011F03
	s_and_b32 s82, s82, 0xffffff                               // 00000000EA00: 8652FF52 00FFFFFF
	s_cmp_lt_u32 s82, s66                                      // 00000000EA08: BF0A4252
	s_cselect_b32 s21, s36, s60                                // 00000000EA0C: 85153C24
	s_mov_b64 exec, s[20:21]                                   // 00000000EA10: BEFE0114
	global_atomic_add_f32 v6, v171, s[8:9] offset:8            // 00000000EA14: DD348008 0008AB06
	global_atomic_add_f32 v6, v175, s[8:9] offset:264          // 00000000EA1C: DD348108 0008AF06
	s_mov_b64 exec, s[36:37]                                   // 00000000EA24: BEFE0124
	v_mov_b32_e32 v6, v68                                      // 00000000EA28: 7E0C0344
	s_mov_b64 s[60:61], 0                                      // 00000000EA2C: BEBC0180
	v_readlane_b32 s82, v3, 16                                 // 00000000EA30: D2890052 00012103
	s_and_b32 s82, s82, 0xffffff                               // 00000000EA38: 8652FF52 00FFFFFF
	s_cmp_lt_u32 s82, s66                                      // 00000000EA40: BF0A4252
	s_cselect_b32 s20, s36, s60                                // 00000000EA44: 85143C24
	v_readlane_b32 s82, v3, 17                                 // 00000000EA48: D2890052 00012303
	s_and_b32 s82, s82, 0xffffff                               // 00000000EA50: 8652FF52 00FFFFFF
	s_cmp_lt_u32 s82, s66                                      // 00000000EA58: BF0A4252
	s_cselect_b32 s21, s36, s60                                // 00000000EA5C: 85153C24
	s_mov_b64 exec, s[20:21]                                   // 00000000EA60: BEFE0114
	global_atomic_add_f32 v6, v178, s[8:9] offset:8            // 00000000EA64: DD348008 0008B206
	global_atomic_add_f32 v6, v182, s[8:9] offset:264          // 00000000EA6C: DD348108 0008B606
	s_mov_b64 exec, s[36:37]                                   // 00000000EA74: BEFE0124
	v_mov_b32_e32 v6, v69                                      // 00000000EA78: 7E0C0345
	s_mov_b64 s[60:61], 0                                      // 00000000EA7C: BEBC0180
	v_readlane_b32 s82, v3, 18                                 // 00000000EA80: D2890052 00012503
	s_and_b32 s82, s82, 0xffffff                               // 00000000EA88: 8652FF52 00FFFFFF
	s_cmp_lt_u32 s82, s66                                      // 00000000EA90: BF0A4252
	s_cselect_b32 s20, s36, s60                                // 00000000EA94: 85143C24
	v_readlane_b32 s82, v3, 19                                 // 00000000EA98: D2890052 00012703
	s_and_b32 s82, s82, 0xffffff                               // 00000000EAA0: 8652FF52 00FFFFFF
	s_cmp_lt_u32 s82, s66                                      // 00000000EAA8: BF0A4252
	s_cselect_b32 s21, s36, s60                                // 00000000EAAC: 85153C24
	s_mov_b64 exec, s[20:21]                                   // 00000000EAB0: BEFE0114
	global_atomic_add_f32 v6, v179, s[8:9] offset:8            // 00000000EAB4: DD348008 0008B306
	global_atomic_add_f32 v6, v183, s[8:9] offset:264          // 00000000EABC: DD348108 0008B706
	s_mov_b64 exec, s[36:37]                                   // 00000000EAC4: BEFE0124
	v_mov_b32_e32 v6, v70                                      // 00000000EAC8: 7E0C0346
	s_mov_b64 s[60:61], 0                                      // 00000000EACC: BEBC0180
	v_readlane_b32 s82, v3, 20                                 // 00000000EAD0: D2890052 00012903
	s_and_b32 s82, s82, 0xffffff                               // 00000000EAD8: 8652FF52 00FFFFFF
	s_cmp_lt_u32 s82, s66                                      // 00000000EAE0: BF0A4252
	s_cselect_b32 s20, s36, s60                                // 00000000EAE4: 85143C24
	v_readlane_b32 s82, v3, 21                                 // 00000000EAE8: D2890052 00012B03
	s_and_b32 s82, s82, 0xffffff                               // 00000000EAF0: 8652FF52 00FFFFFF
	s_cmp_lt_u32 s82, s66                                      // 00000000EAF8: BF0A4252
	s_cselect_b32 s21, s36, s60                                // 00000000EAFC: 85153C24
	s_mov_b64 exec, s[20:21]                                   // 00000000EB00: BEFE0114
	global_atomic_add_f32 v6, v186, s[8:9] offset:8            // 00000000EB04: DD348008 0008BA06
	global_atomic_add_f32 v6, v190, s[8:9] offset:264          // 00000000EB0C: DD348108 0008BE06
	s_mov_b64 exec, s[36:37]                                   // 00000000EB14: BEFE0124
	v_mov_b32_e32 v6, v71                                      // 00000000EB18: 7E0C0347
	s_mov_b64 s[60:61], 0                                      // 00000000EB1C: BEBC0180
	v_readlane_b32 s82, v3, 22                                 // 00000000EB20: D2890052 00012D03
	s_and_b32 s82, s82, 0xffffff                               // 00000000EB28: 8652FF52 00FFFFFF
	s_cmp_lt_u32 s82, s66                                      // 00000000EB30: BF0A4252
	s_cselect_b32 s20, s36, s60                                // 00000000EB34: 85143C24
	v_readlane_b32 s82, v3, 23                                 // 00000000EB38: D2890052 00012F03
	s_and_b32 s82, s82, 0xffffff                               // 00000000EB40: 8652FF52 00FFFFFF
	s_cmp_lt_u32 s82, s66                                      // 00000000EB48: BF0A4252
	s_cselect_b32 s21, s36, s60                                // 00000000EB4C: 85153C24
	s_mov_b64 exec, s[20:21]                                   // 00000000EB50: BEFE0114
	global_atomic_add_f32 v6, v187, s[8:9] offset:8            // 00000000EB54: DD348008 0008BB06
	global_atomic_add_f32 v6, v191, s[8:9] offset:264          // 00000000EB5C: DD348108 0008BF06
	s_mov_b64 exec, s[36:37]                                   // 00000000EB64: BEFE0124
	v_mov_b32_e32 v6, v72                                      // 00000000EB68: 7E0C0348
	s_mov_b64 s[60:61], 0                                      // 00000000EB6C: BEBC0180
	v_readlane_b32 s82, v3, 24                                 // 00000000EB70: D2890052 00013103
	s_and_b32 s82, s82, 0xffffff                               // 00000000EB78: 8652FF52 00FFFFFF
	s_cmp_lt_u32 s82, s66                                      // 00000000EB80: BF0A4252
	s_cselect_b32 s20, s36, s60                                // 00000000EB84: 85143C24
	v_readlane_b32 s82, v3, 25                                 // 00000000EB88: D2890052 00013303
	s_and_b32 s82, s82, 0xffffff                               // 00000000EB90: 8652FF52 00FFFFFF
	s_cmp_lt_u32 s82, s66                                      // 00000000EB98: BF0A4252
	s_cselect_b32 s21, s36, s60                                // 00000000EB9C: 85153C24
	s_mov_b64 exec, s[20:21]                                   // 00000000EBA0: BEFE0114
	global_atomic_add_f32 v6, v194, s[8:9] offset:8            // 00000000EBA4: DD348008 0008C206
	global_atomic_add_f32 v6, v198, s[8:9] offset:264          // 00000000EBAC: DD348108 0008C606
	s_mov_b64 exec, s[36:37]                                   // 00000000EBB4: BEFE0124
	v_mov_b32_e32 v6, v73                                      // 00000000EBB8: 7E0C0349
	s_mov_b64 s[60:61], 0                                      // 00000000EBBC: BEBC0180
	v_readlane_b32 s82, v3, 26                                 // 00000000EBC0: D2890052 00013503
	s_and_b32 s82, s82, 0xffffff                               // 00000000EBC8: 8652FF52 00FFFFFF
	s_cmp_lt_u32 s82, s66                                      // 00000000EBD0: BF0A4252
	s_cselect_b32 s20, s36, s60                                // 00000000EBD4: 85143C24
	v_readlane_b32 s82, v3, 27                                 // 00000000EBD8: D2890052 00013703
	s_and_b32 s82, s82, 0xffffff                               // 00000000EBE0: 8652FF52 00FFFFFF
	s_cmp_lt_u32 s82, s66                                      // 00000000EBE8: BF0A4252
	s_cselect_b32 s21, s36, s60                                // 00000000EBEC: 85153C24
	s_mov_b64 exec, s[20:21]                                   // 00000000EBF0: BEFE0114
	global_atomic_add_f32 v6, v195, s[8:9] offset:8            // 00000000EBF4: DD348008 0008C306
	global_atomic_add_f32 v6, v199, s[8:9] offset:264          // 00000000EBFC: DD348108 0008C706
	s_mov_b64 exec, s[36:37]                                   // 00000000EC04: BEFE0124
	v_mov_b32_e32 v6, v74                                      // 00000000EC08: 7E0C034A
	s_mov_b64 s[60:61], 0                                      // 00000000EC0C: BEBC0180
	v_readlane_b32 s82, v3, 28                                 // 00000000EC10: D2890052 00013903
	s_and_b32 s82, s82, 0xffffff                               // 00000000EC18: 8652FF52 00FFFFFF
	s_cmp_lt_u32 s82, s66                                      // 00000000EC20: BF0A4252
	s_cselect_b32 s20, s36, s60                                // 00000000EC24: 85143C24
	v_readlane_b32 s82, v3, 29                                 // 00000000EC28: D2890052 00013B03
	s_and_b32 s82, s82, 0xffffff                               // 00000000EC30: 8652FF52 00FFFFFF
	s_cmp_lt_u32 s82, s66                                      // 00000000EC38: BF0A4252
	s_cselect_b32 s21, s36, s60                                // 00000000EC3C: 85153C24
	s_mov_b64 exec, s[20:21]                                   // 00000000EC40: BEFE0114
	global_atomic_add_f32 v6, v202, s[8:9] offset:8            // 00000000EC44: DD348008 0008CA06
	global_atomic_add_f32 v6, v206, s[8:9] offset:264          // 00000000EC4C: DD348108 0008CE06
	s_mov_b64 exec, s[36:37]                                   // 00000000EC54: BEFE0124
	v_mov_b32_e32 v6, v75                                      // 00000000EC58: 7E0C034B
	s_mov_b64 s[60:61], 0                                      // 00000000EC5C: BEBC0180
	v_readlane_b32 s82, v3, 30                                 // 00000000EC60: D2890052 00013D03
	s_and_b32 s82, s82, 0xffffff                               // 00000000EC68: 8652FF52 00FFFFFF
	s_cmp_lt_u32 s82, s66                                      // 00000000EC70: BF0A4252
	s_cselect_b32 s20, s36, s60                                // 00000000EC74: 85143C24
	v_readlane_b32 s82, v3, 31                                 // 00000000EC78: D2890052 00013F03
	s_and_b32 s82, s82, 0xffffff                               // 00000000EC80: 8652FF52 00FFFFFF
	s_cmp_lt_u32 s82, s66                                      // 00000000EC88: BF0A4252
	s_cselect_b32 s21, s36, s60                                // 00000000EC8C: 85153C24
	s_mov_b64 exec, s[20:21]                                   // 00000000EC90: BEFE0114
	global_atomic_add_f32 v6, v203, s[8:9] offset:8            // 00000000EC94: DD348008 0008CB06
	global_atomic_add_f32 v6, v207, s[8:9] offset:264          // 00000000EC9C: DD348108 0008CF06
	s_mov_b64 exec, s[36:37]                                   // 00000000ECA4: BEFE0124
	s_branch label_30AE                                        // 00000000ECA8: BF820000

000000000000ecac <label_30AE>:
	s_waitcnt vmcnt(0) expcnt(0) lgkmcnt(0)                    // 00000000ECAC: BF8C0000
	s_endpgm                                                   // 00000000ECB0: BF810000
